;; amdgpu-corpus repo=ROCm/aiter kind=harvested arch=n/a opt=n/a

/root/src/amdgpu-assembly/repos/ROCm__aiter/hsa/gfx942/fmoe_2stages/fmoe_stage1_bf16_pertokenInt8_g1u1_144x128_pf3.co:	file format elf64-amdgpu

Disassembly of section .text:

0000000000002a00 <_ZN5aiter46fmoe_stage1_bf16_pertokenInt8_g1u1_144x128_pf3E>:
	s_and_b32 s1, s1, 0xffff                                   // 000000002A00: 8601FF01 0000FFFF
	s_load_dwordx2 s[8:9], s[0:1], 0x0                         // 000000002A08: C0060200 00000000
	s_load_dwordx2 s[20:21], s[0:1], 0x10                      // 000000002A10: C0060500 00000010
	s_load_dwordx2 s[24:25], s[0:1], 0x20                      // 000000002A18: C0060600 00000020
	s_load_dwordx2 s[48:49], s[0:1], 0x30                      // 000000002A20: C0060C00 00000030
	s_load_dwordx2 s[28:29], s[0:1], 0x40                      // 000000002A28: C0060700 00000040
	s_load_dwordx2 s[32:33], s[0:1], 0x50                      // 000000002A30: C0060800 00000050
	s_load_dwordx2 s[36:37], s[0:1], 0x60                      // 000000002A38: C0060900 00000060
	s_load_dwordx2 s[12:13], s[0:1], 0x70                      // 000000002A40: C0060300 00000070
	s_load_dwordx2 s[44:45], s[0:1], 0x80                      // 000000002A48: C0060B00 00000080
	s_mov_b32 s89, 0                                           // 000000002A50: BED90080
	s_load_dword s64, s[0:1], 0x90                             // 000000002A54: C0021000 00000090
	s_load_dword s65, s[0:1], 0xa0                             // 000000002A5C: C0021040 000000A0
	s_load_dword s66, s[0:1], 0xb0                             // 000000002A64: C0021080 000000B0
	s_load_dword s67, s[0:1], 0xc0                             // 000000002A6C: C00210C0 000000C0
	s_load_dword s68, s[0:1], 0xd0                             // 000000002A74: C0021100 000000D0
	s_load_dword s69, s[0:1], 0xe0                             // 000000002A7C: C0021140 000000E0
	s_load_dword s71, s[0:1], 0xf0                             // 000000002A84: C00211C0 000000F0
	s_load_dword s72, s[0:1], 0x100                            // 000000002A8C: C0021200 00000100
	s_load_dword s74, s[0:1], 0x110                            // 000000002A94: C0021280 00000110
	s_load_dword s76, s[0:1], 0x120                            // 000000002A9C: C0021300 00000120
	s_load_dword s56, s[0:1], 0x130                            // 000000002AA4: C0020E00 00000130
	s_load_dword s88, s[0:1], 0x140                            // 000000002AAC: C0021600 00000140
	s_load_dword s89, s[0:1], 0x150                            // 000000002AB4: C0021640 00000150
	v_lshrrev_b32_e32 v1, 10, v0                               // 000000002ABC: 2002008A
	v_lshrrev_b32_e32 v2, 10, v1                               // 000000002AC0: 2004028A
	v_and_b32_e32 v2, 0x3ff, v2                                // 000000002AC4: 260404FF 000003FF
	v_and_b32_e32 v1, 0x3ff, v1                                // 000000002ACC: 260202FF 000003FF
	v_and_b32_e32 v0, 0x3ff, v0                                // 000000002AD4: 260000FF 000003FF
	v_lshrrev_b32_e32 v3, 6, v0                                // 000000002ADC: 20060086
	v_and_b32_e32 v0, 63, v0                                   // 000000002AE0: 260000BF
	s_mov_b32 s2, s2                                           // 000000002AE4: BE820002
	s_mov_b32 s3, s3                                           // 000000002AE8: BE830003
	s_mov_b32 s4, s4                                           // 000000002AEC: BE840004
	v_readfirstlane_b32 s7, v3                                 // 000000002AF0: 7E0E0503
	s_waitcnt lgkmcnt(0)                                       // 000000002AF4: BF8CC07F
	s_and_b32 s49, s49, 0xffff                                 // 000000002AF8: 8631FF31 0000FFFF
	s_load_dword s48, s[48:49], 0x0                            // 000000002B00: C0020C18 00000000
	s_and_b32 s45, s45, 0xffff                                 // 000000002B08: 862DFF2D 0000FFFF
	s_and_b32 s9, s9, 0xffff                                   // 000000002B10: 8609FF09 0000FFFF
	s_mul_i32 s60, s66, s68                                    // 000000002B18: 923C4442
	s_mul_i32 s61, s66, 4                                      // 000000002B1C: 923D8442
	s_mov_b32 s22, s60                                         // 000000002B20: BE96003C
	s_mov_b32 s26, -16                                         // 000000002B24: BE9A00D0
	s_mov_b32 s30, s61                                         // 000000002B28: BE9E003D
	s_mov_b32 s14, 0x240                                       // 000000002B2C: BE8E00FF 00000240
	s_mov_b32 s38, -16                                         // 000000002B34: BEA600D0
	s_mov_b32 s10, -16                                         // 000000002B38: BE8A00D0
	s_mov_b32 s34, 0x200                                       // 000000002B3C: BEA200FF 00000200
	s_mov_b32 s23, 0x20000                                     // 000000002B44: BE9700FF 00020000
	s_mov_b32 s27, 0x20000                                     // 000000002B4C: BE9B00FF 00020000
	s_mov_b32 s31, 0x20000                                     // 000000002B54: BE9F00FF 00020000
	s_mov_b32 s35, 0x20000                                     // 000000002B5C: BEA300FF 00020000
	s_mov_b32 s15, 0x20000                                     // 000000002B64: BE8F00FF 00020000
	s_mov_b32 s39, 0x20000                                     // 000000002B6C: BEA700FF 00020000
	s_mov_b32 s11, 0x20000                                     // 000000002B74: BE8B00FF 00020000
	s_and_b32 s21, s21, 0xffff                                 // 000000002B7C: 8615FF15 0000FFFF
	s_and_b32 s25, s25, 0xffff                                 // 000000002B84: 8619FF19 0000FFFF
	s_and_b32 s29, s29, 0xffff                                 // 000000002B8C: 861DFF1D 0000FFFF
	s_and_b32 s33, s33, 0xffff                                 // 000000002B94: 8621FF21 0000FFFF
	s_and_b32 s13, s13, 0xffff                                 // 000000002B9C: 860DFF0D 0000FFFF
	s_and_b32 s37, s37, 0xffff                                 // 000000002BA4: 8625FF25 0000FFFF
	s_or_b32 s21, s21, 0x40000                                 // 000000002BAC: 8715FF15 00040000
	s_or_b32 s25, s25, 0x40000                                 // 000000002BB4: 8719FF19 00040000
	s_or_b32 s29, s29, 0x40000                                 // 000000002BBC: 871DFF1D 00040000
	s_or_b32 s33, s33, 0x40000                                 // 000000002BC4: 8721FF21 00040000
	s_or_b32 s13, s13, 0x40000                                 // 000000002BCC: 870DFF0D 00040000
	s_or_b32 s37, s37, 0x40000                                 // 000000002BD4: 8725FF25 00040000
	v_accvgpr_write_b32 a191, 0                                // 000000002BDC: D3D940BF 18000080
	v_mov_b32_e32 v231, 0                                      // 000000002BE4: 7FCE0280
	s_waitcnt lgkmcnt(0)                                       // 000000002BE8: BF8CC07F
	s_mul_i32 s60, s3, 0x90                                    // 000000002BEC: 923CFF03 00000090
	s_cmp_lt_i32 s60, s48                                      // 000000002BF4: BF04303C
	s_cbranch_scc0 label_4416                                  // 000000002BF8: BF844394
	s_mov_b32 s80, 0                                           // 000000002BFC: BED00080
	s_lshr_b32 s81, s64, s88                                   // 000000002C00: 8F515840
	s_mul_i32 s60, s3, 4                                       // 000000002C04: 923C8403
	s_add_u32 s44, s60, s44                                    // 000000002C08: 802C2C3C
	s_addc_u32 s45, 0, s45                                     // 000000002C0C: 822D2D80
	s_load_dword s5, s[44:45], 0x0                             // 000000002C10: C0020156 00000000
	s_mul_i32 s60, s3, 0x90                                    // 000000002C18: 923CFF03 00000090
	s_mul_i32 s60, 4, s60                                      // 000000002C20: 923C3C84
	s_add_u32 s12, s60, s12                                    // 000000002C24: 800C0C3C
	s_addc_u32 s13, 0, s13                                     // 000000002C28: 820D0D80
	v_and_b32_e32 v4, 15, v0                                   // 000000002C2C: 2608008F
	v_lshlrev_b32_e32 v4, 2, v4                                // 000000002C30: 24080882
	buffer_load_dword v30, v4, s[12:15], 0 offen               // 000000002C34: E0501000 80031E04
	v_add_u32_e32 v4, 64, v4                                   // 000000002C3C: 680808C0
	buffer_load_dword v31, v4, s[12:15], 0 offen               // 000000002C40: E0501000 80031F04
	v_add_u32_e32 v4, 64, v4                                   // 000000002C48: 680808C0
	buffer_load_dword v32, v4, s[12:15], 0 offen               // 000000002C4C: E0501000 80032004
	v_add_u32_e32 v4, 64, v4                                   // 000000002C54: 680808C0
	buffer_load_dword v33, v4, s[12:15], 0 offen               // 000000002C58: E0501000 80032104
	v_add_u32_e32 v4, 64, v4                                   // 000000002C60: 680808C0
	buffer_load_dword v34, v4, s[12:15], 0 offen               // 000000002C64: E0501000 80032204
	v_add_u32_e32 v4, 64, v4                                   // 000000002C6C: 680808C0
	buffer_load_dword v35, v4, s[12:15], 0 offen               // 000000002C70: E0501000 80032304
	v_add_u32_e32 v4, 64, v4                                   // 000000002C78: 680808C0
	buffer_load_dword v36, v4, s[12:15], 0 offen               // 000000002C7C: E0501000 80032404
	v_add_u32_e32 v4, 64, v4                                   // 000000002C84: 680808C0
	buffer_load_dword v37, v4, s[12:15], 0 offen               // 000000002C88: E0501000 80032504
	v_add_u32_e32 v4, 64, v4                                   // 000000002C90: 680808C0
	buffer_load_dword v38, v4, s[12:15], 0 offen               // 000000002C94: E0501000 80032604
	v_add_u32_e32 v4, 64, v4                                   // 000000002C9C: 680808C0
	s_mul_i32 s60, 4, s7                                       // 000000002CA0: 923C0784
	v_lshlrev_b32_e32 v4, 4, v0                                // 000000002CA4: 24080084
	v_add_u32_e32 v4, s60, v4                                  // 000000002CA8: 6808083C
	buffer_load_dword v3, v4, s[12:15], 0 offen                // 000000002CAC: E0501000 80030304
	v_mov_b32_e32 v88, 0                                       // 000000002CB4: 7EB00280
	v_mov_b32_e32 v160, 0                                      // 000000002CB8: 7F400280
	v_mov_b32_e32 v89, 0                                       // 000000002CBC: 7EB20280
	v_mov_b32_e32 v161, 0                                      // 000000002CC0: 7F420280
	v_mov_b32_e32 v90, 0                                       // 000000002CC4: 7EB40280
	v_mov_b32_e32 v162, 0                                      // 000000002CC8: 7F440280
	v_mov_b32_e32 v91, 0                                       // 000000002CCC: 7EB60280
	v_mov_b32_e32 v163, 0                                      // 000000002CD0: 7F460280
	v_mov_b32_e32 v92, 0                                       // 000000002CD4: 7EB80280
	v_mov_b32_e32 v164, 0                                      // 000000002CD8: 7F480280
	v_mov_b32_e32 v93, 0                                       // 000000002CDC: 7EBA0280
	v_mov_b32_e32 v165, 0                                      // 000000002CE0: 7F4A0280
	v_mov_b32_e32 v94, 0                                       // 000000002CE4: 7EBC0280
	v_mov_b32_e32 v166, 0                                      // 000000002CE8: 7F4C0280
	v_mov_b32_e32 v95, 0                                       // 000000002CEC: 7EBE0280
	v_mov_b32_e32 v167, 0                                      // 000000002CF0: 7F4E0280
	v_mov_b32_e32 v96, 0                                       // 000000002CF4: 7EC00280
	v_mov_b32_e32 v168, 0                                      // 000000002CF8: 7F500280
	v_mov_b32_e32 v97, 0                                       // 000000002CFC: 7EC20280
	v_mov_b32_e32 v169, 0                                      // 000000002D00: 7F520280
	v_mov_b32_e32 v98, 0                                       // 000000002D04: 7EC40280
	v_mov_b32_e32 v170, 0                                      // 000000002D08: 7F540280
	v_mov_b32_e32 v99, 0                                       // 000000002D0C: 7EC60280
	v_mov_b32_e32 v171, 0                                      // 000000002D10: 7F560280
	v_mov_b32_e32 v100, 0                                      // 000000002D14: 7EC80280
	v_mov_b32_e32 v172, 0                                      // 000000002D18: 7F580280
	v_mov_b32_e32 v101, 0                                      // 000000002D1C: 7ECA0280
	v_mov_b32_e32 v173, 0                                      // 000000002D20: 7F5A0280
	v_mov_b32_e32 v102, 0                                      // 000000002D24: 7ECC0280
	v_mov_b32_e32 v174, 0                                      // 000000002D28: 7F5C0280
	v_mov_b32_e32 v103, 0                                      // 000000002D2C: 7ECE0280
	v_mov_b32_e32 v175, 0                                      // 000000002D30: 7F5E0280
	v_mov_b32_e32 v104, 0                                      // 000000002D34: 7ED00280
	v_mov_b32_e32 v176, 0                                      // 000000002D38: 7F600280
	v_mov_b32_e32 v105, 0                                      // 000000002D3C: 7ED20280
	v_mov_b32_e32 v177, 0                                      // 000000002D40: 7F620280
	v_mov_b32_e32 v106, 0                                      // 000000002D44: 7ED40280
	v_mov_b32_e32 v178, 0                                      // 000000002D48: 7F640280
	v_mov_b32_e32 v107, 0                                      // 000000002D4C: 7ED60280
	v_mov_b32_e32 v179, 0                                      // 000000002D50: 7F660280
	v_mov_b32_e32 v108, 0                                      // 000000002D54: 7ED80280
	v_mov_b32_e32 v180, 0                                      // 000000002D58: 7F680280
	v_mov_b32_e32 v109, 0                                      // 000000002D5C: 7EDA0280
	v_mov_b32_e32 v181, 0                                      // 000000002D60: 7F6A0280
	v_mov_b32_e32 v110, 0                                      // 000000002D64: 7EDC0280
	v_mov_b32_e32 v182, 0                                      // 000000002D68: 7F6C0280
	v_mov_b32_e32 v111, 0                                      // 000000002D6C: 7EDE0280
	v_mov_b32_e32 v183, 0                                      // 000000002D70: 7F6E0280
	v_mov_b32_e32 v112, 0                                      // 000000002D74: 7EE00280
	v_mov_b32_e32 v184, 0                                      // 000000002D78: 7F700280
	v_mov_b32_e32 v113, 0                                      // 000000002D7C: 7EE20280
	v_mov_b32_e32 v185, 0                                      // 000000002D80: 7F720280
	v_mov_b32_e32 v114, 0                                      // 000000002D84: 7EE40280
	v_mov_b32_e32 v186, 0                                      // 000000002D88: 7F740280
	v_mov_b32_e32 v115, 0                                      // 000000002D8C: 7EE60280
	v_mov_b32_e32 v187, 0                                      // 000000002D90: 7F760280
	v_mov_b32_e32 v116, 0                                      // 000000002D94: 7EE80280
	v_mov_b32_e32 v188, 0                                      // 000000002D98: 7F780280
	v_mov_b32_e32 v117, 0                                      // 000000002D9C: 7EEA0280
	v_mov_b32_e32 v189, 0                                      // 000000002DA0: 7F7A0280
	v_mov_b32_e32 v118, 0                                      // 000000002DA4: 7EEC0280
	v_mov_b32_e32 v190, 0                                      // 000000002DA8: 7F7C0280
	v_mov_b32_e32 v119, 0                                      // 000000002DAC: 7EEE0280
	v_mov_b32_e32 v191, 0                                      // 000000002DB0: 7F7E0280
	v_mov_b32_e32 v120, 0                                      // 000000002DB4: 7EF00280
	v_mov_b32_e32 v192, 0                                      // 000000002DB8: 7F800280
	v_mov_b32_e32 v121, 0                                      // 000000002DBC: 7EF20280
	v_mov_b32_e32 v193, 0                                      // 000000002DC0: 7F820280
	v_mov_b32_e32 v122, 0                                      // 000000002DC4: 7EF40280
	v_mov_b32_e32 v194, 0                                      // 000000002DC8: 7F840280
	v_mov_b32_e32 v123, 0                                      // 000000002DCC: 7EF60280
	v_mov_b32_e32 v195, 0                                      // 000000002DD0: 7F860280
	v_mov_b32_e32 v124, 0                                      // 000000002DD4: 7EF80280
	v_mov_b32_e32 v196, 0                                      // 000000002DD8: 7F880280
	v_mov_b32_e32 v125, 0                                      // 000000002DDC: 7EFA0280
	v_mov_b32_e32 v197, 0                                      // 000000002DE0: 7F8A0280
	v_mov_b32_e32 v126, 0                                      // 000000002DE4: 7EFC0280
	v_mov_b32_e32 v198, 0                                      // 000000002DE8: 7F8C0280
	v_mov_b32_e32 v127, 0                                      // 000000002DEC: 7EFE0280
	v_mov_b32_e32 v199, 0                                      // 000000002DF0: 7F8E0280
	v_mov_b32_e32 v128, 0                                      // 000000002DF4: 7F000280
	v_mov_b32_e32 v200, 0                                      // 000000002DF8: 7F900280
	v_mov_b32_e32 v129, 0                                      // 000000002DFC: 7F020280
	v_mov_b32_e32 v201, 0                                      // 000000002E00: 7F920280
	v_mov_b32_e32 v130, 0                                      // 000000002E04: 7F040280
	v_mov_b32_e32 v202, 0                                      // 000000002E08: 7F940280
	v_mov_b32_e32 v131, 0                                      // 000000002E0C: 7F060280
	v_mov_b32_e32 v203, 0                                      // 000000002E10: 7F960280
	v_mov_b32_e32 v132, 0                                      // 000000002E14: 7F080280
	v_mov_b32_e32 v204, 0                                      // 000000002E18: 7F980280
	v_mov_b32_e32 v133, 0                                      // 000000002E1C: 7F0A0280
	v_mov_b32_e32 v205, 0                                      // 000000002E20: 7F9A0280
	v_mov_b32_e32 v134, 0                                      // 000000002E24: 7F0C0280
	v_mov_b32_e32 v206, 0                                      // 000000002E28: 7F9C0280
	v_mov_b32_e32 v135, 0                                      // 000000002E2C: 7F0E0280
	v_mov_b32_e32 v207, 0                                      // 000000002E30: 7F9E0280
	v_mov_b32_e32 v136, 0                                      // 000000002E34: 7F100280
	v_mov_b32_e32 v208, 0                                      // 000000002E38: 7FA00280
	v_mov_b32_e32 v137, 0                                      // 000000002E3C: 7F120280
	v_mov_b32_e32 v209, 0                                      // 000000002E40: 7FA20280
	v_mov_b32_e32 v138, 0                                      // 000000002E44: 7F140280
	v_mov_b32_e32 v210, 0                                      // 000000002E48: 7FA40280
	v_mov_b32_e32 v139, 0                                      // 000000002E4C: 7F160280
	v_mov_b32_e32 v211, 0                                      // 000000002E50: 7FA60280
	v_mov_b32_e32 v140, 0                                      // 000000002E54: 7F180280
	v_mov_b32_e32 v212, 0                                      // 000000002E58: 7FA80280
	v_mov_b32_e32 v141, 0                                      // 000000002E5C: 7F1A0280
	v_mov_b32_e32 v213, 0                                      // 000000002E60: 7FAA0280
	v_mov_b32_e32 v142, 0                                      // 000000002E64: 7F1C0280
	v_mov_b32_e32 v214, 0                                      // 000000002E68: 7FAC0280
	v_mov_b32_e32 v143, 0                                      // 000000002E6C: 7F1E0280
	v_mov_b32_e32 v215, 0                                      // 000000002E70: 7FAE0280
	v_mov_b32_e32 v144, 0                                      // 000000002E74: 7F200280
	v_mov_b32_e32 v216, 0                                      // 000000002E78: 7FB00280
	v_mov_b32_e32 v145, 0                                      // 000000002E7C: 7F220280
	v_mov_b32_e32 v217, 0                                      // 000000002E80: 7FB20280
	v_mov_b32_e32 v146, 0                                      // 000000002E84: 7F240280
	v_mov_b32_e32 v218, 0                                      // 000000002E88: 7FB40280
	v_mov_b32_e32 v147, 0                                      // 000000002E8C: 7F260280
	v_mov_b32_e32 v219, 0                                      // 000000002E90: 7FB60280
	v_mov_b32_e32 v148, 0                                      // 000000002E94: 7F280280
	v_mov_b32_e32 v220, 0                                      // 000000002E98: 7FB80280
	v_mov_b32_e32 v149, 0                                      // 000000002E9C: 7F2A0280
	v_mov_b32_e32 v221, 0                                      // 000000002EA0: 7FBA0280
	v_mov_b32_e32 v150, 0                                      // 000000002EA4: 7F2C0280
	v_mov_b32_e32 v222, 0                                      // 000000002EA8: 7FBC0280
	v_mov_b32_e32 v151, 0                                      // 000000002EAC: 7F2E0280
	v_mov_b32_e32 v223, 0                                      // 000000002EB0: 7FBE0280
	v_mov_b32_e32 v152, 0                                      // 000000002EB4: 7F300280
	v_mov_b32_e32 v224, 0                                      // 000000002EB8: 7FC00280
	v_mov_b32_e32 v153, 0                                      // 000000002EBC: 7F320280
	v_mov_b32_e32 v225, 0                                      // 000000002EC0: 7FC20280
	v_mov_b32_e32 v154, 0                                      // 000000002EC4: 7F340280
	v_mov_b32_e32 v226, 0                                      // 000000002EC8: 7FC40280
	v_mov_b32_e32 v155, 0                                      // 000000002ECC: 7F360280
	v_mov_b32_e32 v227, 0                                      // 000000002ED0: 7FC60280
	v_mov_b32_e32 v156, 0                                      // 000000002ED4: 7F380280
	v_mov_b32_e32 v228, 0                                      // 000000002ED8: 7FC80280
	v_mov_b32_e32 v157, 0                                      // 000000002EDC: 7F3A0280
	v_mov_b32_e32 v229, 0                                      // 000000002EE0: 7FCA0280
	v_mov_b32_e32 v158, 0                                      // 000000002EE4: 7F3C0280
	v_mov_b32_e32 v230, 0                                      // 000000002EE8: 7FCC0280
	v_mov_b32_e32 v159, 0                                      // 000000002EEC: 7F3E0280
	v_mov_b32_e32 v231, 0                                      // 000000002EF0: 7FCE0280
	s_mul_i32 s60, s2, 0x100                                   // 000000002EF4: 923CFF02 00000100
	s_cmp_eq_u32 s88, 0                                        // 000000002EFC: BF068058
	s_cselect_b32 s61, 1, 2                                    // 000000002F00: 853D8281
	s_mul_i32 s60, s60, s61                                    // 000000002F04: 923C3D3C
	s_mov_b32 s90, s8                                          // 000000002F08: BEDA0008
	s_mov_b32 s91, s9                                          // 000000002F0C: BEDB0009
	s_add_u32 s8, s60, s8                                      // 000000002F10: 8008083C
	s_addc_u32 s9, 0, s9                                       // 000000002F14: 82090980
	v_lshrrev_b32_e32 v4, 4, v0                                // 000000002F18: 20080084
	v_mul_lo_u32 v20, 34, v4                                   // 000000002F1C: D2850014 000208A2
	v_and_b32_e32 v4, 15, v0                                   // 000000002F24: 2608008F
	v_mul_lo_u32 v5, 2, v4                                     // 000000002F28: D2850005 00020882
	v_add_u32_e32 v20, v5, v20                                 // 000000002F30: 68282905
	s_mul_i32 s60, s7, 0x88                                    // 000000002F34: 923CFF07 00000088
	v_add_u32_e32 v20, s60, v20                                // 000000002F3C: 6828283C
	v_lshlrev_b32_e32 v20, 2, v20                              // 000000002F40: 24282882
	v_and_b32_e32 v4, 31, v0                                   // 000000002F44: 2608009F
	v_lshrrev_b32_e32 v4, 1, v4                                // 000000002F48: 20080881
	v_mul_lo_u32 v21, 34, v4                                   // 000000002F4C: D2850015 000208A2
	v_lshrrev_b32_e32 v4, 5, v0                                // 000000002F54: 20080085
	v_mul_lo_u32 v4, 8, v4                                     // 000000002F58: D2850004 00020888
	v_add_u32_e32 v21, v21, v4                                 // 000000002F60: 682A0915
	v_and_b32_e32 v5, 1, v0                                    // 000000002F64: 260A0081
	v_add_u32_e32 v21, v5, v21                                 // 000000002F68: 682A2B05
	s_mul_i32 s60, s7, 2                                       // 000000002F6C: 923C8207
	v_add_u32_e32 v21, s60, v21                                // 000000002F70: 682A2A3C
	v_lshlrev_b32_e32 v21, 2, v21                              // 000000002F74: 242A2A82
	s_mul_i32 s60, s7, 0x1220                                  // 000000002F78: 923CFF07 00001220
	s_add_u32 s48, 0, s60                                      // 000000002F80: 80303C80
	s_add_u32 s49, 0x4880, s48                                 // 000000002F84: 803130FF 00004880
	s_add_u32 s50, 0x4880, s49                                 // 000000002F8C: 803231FF 00004880
	v_lshrrev_b32_e32 v4, 4, v0                                // 000000002F94: 20080084
	v_lshlrev_b32_e32 v5, 2, v4                                // 000000002F98: 240A0882
	v_and_b32_e32 v4, 15, v0                                   // 000000002F9C: 2608008F
	v_lshrrev_b32_e32 v6, 2, v4                                // 000000002FA0: 200C0882
	v_lshlrev_b32_e32 v6, 5, v6                                // 000000002FA4: 240C0C85
	v_add_u32_e32 v5, v6, v5                                   // 000000002FA8: 680A0B06
	v_and_b32_e32 v4, 3, v0                                    // 000000002FAC: 26080083
	v_mul_u32_u24_e32 v6, 0x488, v4                            // 000000002FB0: 100C08FF 00000488
	v_add_u32_e32 v5, v6, v5                                   // 000000002FB8: 680A0B06
	v_lshlrev_b32_e32 v2, 2, v5                                // 000000002FBC: 24040A82
	s_waitcnt lgkmcnt(0)                                       // 000000002FC0: BF8CC07F
	s_mul_i32 s60, s2, 0x80                                    // 000000002FC4: 923CFF02 00000080
	s_mul_i32 s60, s60, s69                                    // 000000002FCC: 923C453C
	s_mul_i32 s61, s5, s72                                     // 000000002FD0: 923D4805
	s_add_u32 s60, s61, s60                                    // 000000002FD4: 803C3C3D
	s_add_u32 s24, s60, s24                                    // 000000002FD8: 8018183C
	s_addc_u32 s25, 0, s25                                     // 000000002FDC: 82191980
	s_lshr_b32 s60, s64, s88                                   // 000000002FE0: 8F3C5840
	s_mul_i32 s60, s4, s60                                     // 000000002FE4: 923C3C04
	s_lshr_b32 s60, s60, 7                                     // 000000002FE8: 8F3C873C
	s_mul_i32 s60, s60, 0x800                                  // 000000002FEC: 923CFF3C 00000800
	s_add_u32 s24, s60, s24                                    // 000000002FF4: 8018183C
	s_addc_u32 s25, 0, s25                                     // 000000002FF8: 82191980
	s_lshr_b32 s60, s69, s88                                   // 000000002FFC: 8F3C5845
	s_mul_i32 s60, s4, s60                                     // 000000003000: 923C3C04
	s_add_u32 s20, s60, s20                                    // 000000003004: 8014143C
	s_addc_u32 s21, 0, s21                                     // 000000003008: 82151580
	s_mul_i32 s60, s7, 16                                      // 00000000300C: 923C9007
	s_mul_i32 s60, s60, s69                                    // 000000003010: 923C453C
	v_lshlrev_b32_e32 v84, 4, v0                               // 000000003014: 24A80084
	v_add_u32_e32 v84, s60, v84                                // 000000003018: 68A8A83C
	s_mul_i32 s60, 64, s69                                     // 00000000301C: 923C45C0
	v_add_u32_e32 v85, s60, v84                                // 000000003020: 68AAA83C
	s_mov_b32 s84, s24                                         // 000000003024: BED40018
	s_mov_b32 s85, s25                                         // 000000003028: BED50019
	s_mov_b32 s86, s26                                         // 00000000302C: BED6001A
	s_mov_b32 s87, s27                                         // 000000003030: BED7001B
	s_mul_i32 s60, s69, s65                                    // 000000003034: 923C4145
	s_add_u32 s84, s60, s84                                    // 000000003038: 8054543C
	s_addc_u32 s85, 0, s85                                     // 00000000303C: 82555580
	v_lshrrev_b32_e32 v4, 4, v0                                // 000000003040: 20080084
	v_lshlrev_b32_e32 v5, 2, v4                                // 000000003044: 240A0882
	v_and_b32_e32 v4, 15, v0                                   // 000000003048: 2608008F
	v_lshrrev_b32_e32 v6, 2, v4                                // 00000000304C: 200C0882
	v_lshlrev_b32_e32 v6, 6, v6                                // 000000003050: 240C0C86
	v_add_u32_e32 v5, v6, v5                                   // 000000003054: 680A0B06
	v_and_b32_e32 v4, 3, v0                                    // 000000003058: 26080083
	v_add_u32_e32 v5, v4, v5                                   // 00000000305C: 680A0B04
	v_lshlrev_b32_e32 v22, 2, v5                               // 000000003060: 242C0A82
	s_mul_i32 s60, s7, 16                                      // 000000003064: 923C9007
	s_mul_i32 s60, s60, 4                                      // 000000003068: 923C843C
	v_add_u32_e32 v22, s60, v22                                // 00000000306C: 682C2C3C
	s_mul_i32 s60, s2, 0x80                                    // 000000003070: 923CFF02 00000080
	s_mul_i32 s60, s60, 4                                      // 000000003078: 923C843C
	s_mul_i32 s61, s5, s74                                     // 00000000307C: 923D4A05
	s_add_u32 s61, s61, s60                                    // 000000003080: 803D3C3D
	s_add_u32 s32, s61, s32                                    // 000000003084: 8020203D
	s_addc_u32 s33, 0, s33                                     // 000000003088: 82212180
	s_mov_b32 s57, 0x80                                        // 00000000308C: BEB900FF 00000080
	s_mov_b32 s58, 0x800                                       // 000000003094: BEBA00FF 00000800
	s_mov_b32 s83, s58                                         // 00000000309C: BED3003A
	s_mov_b32 s52, 0x7060302                                   // 0000000030A0: BEB400FF 07060302
	s_mov_b32 s53, 0x400                                       // 0000000030A8: BEB500FF 00000400
	s_mov_b32 s54, 0x40100                                     // 0000000030B0: BEB600FF 00040100
	s_mov_b32 s55, 0x4020100                                   // 0000000030B8: BEB700FF 04020100
	s_mov_b32 s6, 0x3fb8aa3b                                   // 0000000030C0: BE8600FF 3FB8AA3B
	s_mov_b32 s78, 0xbd92220c                                  // 0000000030C8: BECE00FF BD92220C
	s_mov_b32 s79, 0xbd92220c                                  // 0000000030D0: BECF00FF BD92220C
	s_mov_b32 m0, s48                                          // 0000000030D8: BEFC0030
	v_mov_b32_e32 v1, 0xbfcc4231                               // 0000000030DC: 7E0202FF BFCC4231
	v_mov_b32_e32 v17, 0xffff0000                              // 0000000030E4: 7E2202FF FFFF0000
	v_mov_b32_e32 v18, 0x7fff0000                              // 0000000030EC: 7E2402FF 7FFF0000
	v_mov_b32_e32 v19, 0x7fff                                  // 0000000030F4: 7E2602FF 00007FFF
	s_waitcnt vmcnt(0) expcnt(0) lgkmcnt(0)                    // 0000000030FC: BF8C0000
	v_lshrrev_b32_e32 v4, 5, v0                                // 000000003100: 20080085
	v_xor_b32_e32 v5, 1, v4                                    // 000000003104: 2A0A0881
	v_readlane_b32 s82, v3, 0                                  // 000000003108: D2890052 00010103
	s_and_b32 s82, s82, 0xffffff                               // 000000003110: 8652FF52 00FFFFFF
	v_mul_lo_u32 v6, v5, s82                                   // 000000003118: D2850006 0000A505
	v_readlane_b32 s82, v3, 1                                  // 000000003120: D2890052 00010303
	s_and_b32 s82, s82, 0xffffff                               // 000000003128: 8652FF52 00FFFFFF
	v_mul_lo_u32 v7, v4, s82                                   // 000000003130: D2850007 0000A504
	v_add_u32_e32 v66, v6, v7                                  // 000000003138: 68840F06
	v_mul_lo_u32 v66, v66, s68                                 // 00000000313C: D2850042 00008942
	v_readlane_b32 s82, v3, 2                                  // 000000003144: D2890052 00010503
	s_and_b32 s82, s82, 0xffffff                               // 00000000314C: 8652FF52 00FFFFFF
	v_mul_lo_u32 v6, v5, s82                                   // 000000003154: D2850006 0000A505
	v_readlane_b32 s82, v3, 3                                  // 00000000315C: D2890052 00010703
	s_and_b32 s82, s82, 0xffffff                               // 000000003164: 8652FF52 00FFFFFF
	v_mul_lo_u32 v7, v4, s82                                   // 00000000316C: D2850007 0000A504
	v_add_u32_e32 v67, v6, v7                                  // 000000003174: 68860F06
	v_mul_lo_u32 v67, v67, s68                                 // 000000003178: D2850043 00008943
	v_readlane_b32 s82, v3, 4                                  // 000000003180: D2890052 00010903
	s_and_b32 s82, s82, 0xffffff                               // 000000003188: 8652FF52 00FFFFFF
	v_mul_lo_u32 v6, v5, s82                                   // 000000003190: D2850006 0000A505
	v_readlane_b32 s82, v3, 5                                  // 000000003198: D2890052 00010B03
	s_and_b32 s82, s82, 0xffffff                               // 0000000031A0: 8652FF52 00FFFFFF
	v_mul_lo_u32 v7, v4, s82                                   // 0000000031A8: D2850007 0000A504
	v_add_u32_e32 v68, v6, v7                                  // 0000000031B0: 68880F06
	v_mul_lo_u32 v68, v68, s68                                 // 0000000031B4: D2850044 00008944
	v_readlane_b32 s82, v3, 6                                  // 0000000031BC: D2890052 00010D03
	s_and_b32 s82, s82, 0xffffff                               // 0000000031C4: 8652FF52 00FFFFFF
	v_mul_lo_u32 v6, v5, s82                                   // 0000000031CC: D2850006 0000A505
	v_readlane_b32 s82, v3, 7                                  // 0000000031D4: D2890052 00010F03
	s_and_b32 s82, s82, 0xffffff                               // 0000000031DC: 8652FF52 00FFFFFF
	v_mul_lo_u32 v7, v4, s82                                   // 0000000031E4: D2850007 0000A504
	v_add_u32_e32 v69, v6, v7                                  // 0000000031EC: 688A0F06
	v_mul_lo_u32 v69, v69, s68                                 // 0000000031F0: D2850045 00008945
	v_readlane_b32 s82, v3, 8                                  // 0000000031F8: D2890052 00011103
	s_and_b32 s82, s82, 0xffffff                               // 000000003200: 8652FF52 00FFFFFF
	v_mul_lo_u32 v6, v5, s82                                   // 000000003208: D2850006 0000A505
	v_readlane_b32 s82, v3, 9                                  // 000000003210: D2890052 00011303
	s_and_b32 s82, s82, 0xffffff                               // 000000003218: 8652FF52 00FFFFFF
	v_mul_lo_u32 v7, v4, s82                                   // 000000003220: D2850007 0000A504
	v_add_u32_e32 v70, v6, v7                                  // 000000003228: 688C0F06
	v_mul_lo_u32 v70, v70, s68                                 // 00000000322C: D2850046 00008946
	v_readlane_b32 s82, v3, 10                                 // 000000003234: D2890052 00011503
	s_and_b32 s82, s82, 0xffffff                               // 00000000323C: 8652FF52 00FFFFFF
	v_mul_lo_u32 v6, v5, s82                                   // 000000003244: D2850006 0000A505
	v_readlane_b32 s82, v3, 11                                 // 00000000324C: D2890052 00011703
	s_and_b32 s82, s82, 0xffffff                               // 000000003254: 8652FF52 00FFFFFF
	v_mul_lo_u32 v7, v4, s82                                   // 00000000325C: D2850007 0000A504
	v_add_u32_e32 v71, v6, v7                                  // 000000003264: 688E0F06
	v_mul_lo_u32 v71, v71, s68                                 // 000000003268: D2850047 00008947
	v_readlane_b32 s82, v3, 12                                 // 000000003270: D2890052 00011903
	s_and_b32 s82, s82, 0xffffff                               // 000000003278: 8652FF52 00FFFFFF
	v_mul_lo_u32 v6, v5, s82                                   // 000000003280: D2850006 0000A505
	v_readlane_b32 s82, v3, 13                                 // 000000003288: D2890052 00011B03
	s_and_b32 s82, s82, 0xffffff                               // 000000003290: 8652FF52 00FFFFFF
	v_mul_lo_u32 v7, v4, s82                                   // 000000003298: D2850007 0000A504
	v_add_u32_e32 v72, v6, v7                                  // 0000000032A0: 68900F06
	v_mul_lo_u32 v72, v72, s68                                 // 0000000032A4: D2850048 00008948
	v_readlane_b32 s82, v3, 14                                 // 0000000032AC: D2890052 00011D03
	s_and_b32 s82, s82, 0xffffff                               // 0000000032B4: 8652FF52 00FFFFFF
	v_mul_lo_u32 v6, v5, s82                                   // 0000000032BC: D2850006 0000A505
	v_readlane_b32 s82, v3, 15                                 // 0000000032C4: D2890052 00011F03
	s_and_b32 s82, s82, 0xffffff                               // 0000000032CC: 8652FF52 00FFFFFF
	v_mul_lo_u32 v7, v4, s82                                   // 0000000032D4: D2850007 0000A504
	v_add_u32_e32 v73, v6, v7                                  // 0000000032DC: 68920F06
	v_mul_lo_u32 v73, v73, s68                                 // 0000000032E0: D2850049 00008949
	v_readlane_b32 s82, v3, 16                                 // 0000000032E8: D2890052 00012103
	s_and_b32 s82, s82, 0xffffff                               // 0000000032F0: 8652FF52 00FFFFFF
	v_mul_lo_u32 v6, v5, s82                                   // 0000000032F8: D2850006 0000A505
	v_readlane_b32 s82, v3, 17                                 // 000000003300: D2890052 00012303
	s_and_b32 s82, s82, 0xffffff                               // 000000003308: 8652FF52 00FFFFFF
	v_mul_lo_u32 v7, v4, s82                                   // 000000003310: D2850007 0000A504
	v_add_u32_e32 v74, v6, v7                                  // 000000003318: 68940F06
	v_mul_lo_u32 v74, v74, s68                                 // 00000000331C: D285004A 0000894A
	v_readlane_b32 s82, v3, 18                                 // 000000003324: D2890052 00012503
	s_and_b32 s82, s82, 0xffffff                               // 00000000332C: 8652FF52 00FFFFFF
	v_mul_lo_u32 v6, v5, s82                                   // 000000003334: D2850006 0000A505
	v_readlane_b32 s82, v3, 19                                 // 00000000333C: D2890052 00012703
	s_and_b32 s82, s82, 0xffffff                               // 000000003344: 8652FF52 00FFFFFF
	v_mul_lo_u32 v7, v4, s82                                   // 00000000334C: D2850007 0000A504
	v_add_u32_e32 v75, v6, v7                                  // 000000003354: 68960F06
	v_mul_lo_u32 v75, v75, s68                                 // 000000003358: D285004B 0000894B
	v_readlane_b32 s82, v3, 20                                 // 000000003360: D2890052 00012903
	s_and_b32 s82, s82, 0xffffff                               // 000000003368: 8652FF52 00FFFFFF
	v_mul_lo_u32 v6, v5, s82                                   // 000000003370: D2850006 0000A505
	v_readlane_b32 s82, v3, 21                                 // 000000003378: D2890052 00012B03
	s_and_b32 s82, s82, 0xffffff                               // 000000003380: 8652FF52 00FFFFFF
	v_mul_lo_u32 v7, v4, s82                                   // 000000003388: D2850007 0000A504
	v_add_u32_e32 v76, v6, v7                                  // 000000003390: 68980F06
	v_mul_lo_u32 v76, v76, s68                                 // 000000003394: D285004C 0000894C
	v_readlane_b32 s82, v3, 22                                 // 00000000339C: D2890052 00012D03
	s_and_b32 s82, s82, 0xffffff                               // 0000000033A4: 8652FF52 00FFFFFF
	v_mul_lo_u32 v6, v5, s82                                   // 0000000033AC: D2850006 0000A505
	v_readlane_b32 s82, v3, 23                                 // 0000000033B4: D2890052 00012F03
	s_and_b32 s82, s82, 0xffffff                               // 0000000033BC: 8652FF52 00FFFFFF
	v_mul_lo_u32 v7, v4, s82                                   // 0000000033C4: D2850007 0000A504
	v_add_u32_e32 v77, v6, v7                                  // 0000000033CC: 689A0F06
	v_mul_lo_u32 v77, v77, s68                                 // 0000000033D0: D285004D 0000894D
	v_readlane_b32 s82, v3, 24                                 // 0000000033D8: D2890052 00013103
	s_and_b32 s82, s82, 0xffffff                               // 0000000033E0: 8652FF52 00FFFFFF
	v_mul_lo_u32 v6, v5, s82                                   // 0000000033E8: D2850006 0000A505
	v_readlane_b32 s82, v3, 25                                 // 0000000033F0: D2890052 00013303
	s_and_b32 s82, s82, 0xffffff                               // 0000000033F8: 8652FF52 00FFFFFF
	v_mul_lo_u32 v7, v4, s82                                   // 000000003400: D2850007 0000A504
	v_add_u32_e32 v78, v6, v7                                  // 000000003408: 689C0F06
	v_mul_lo_u32 v78, v78, s68                                 // 00000000340C: D285004E 0000894E
	v_readlane_b32 s82, v3, 26                                 // 000000003414: D2890052 00013503
	s_and_b32 s82, s82, 0xffffff                               // 00000000341C: 8652FF52 00FFFFFF
	v_mul_lo_u32 v6, v5, s82                                   // 000000003424: D2850006 0000A505
	v_readlane_b32 s82, v3, 27                                 // 00000000342C: D2890052 00013703
	s_and_b32 s82, s82, 0xffffff                               // 000000003434: 8652FF52 00FFFFFF
	v_mul_lo_u32 v7, v4, s82                                   // 00000000343C: D2850007 0000A504
	v_add_u32_e32 v79, v6, v7                                  // 000000003444: 689E0F06
	v_mul_lo_u32 v79, v79, s68                                 // 000000003448: D285004F 0000894F
	v_readlane_b32 s82, v3, 28                                 // 000000003450: D2890052 00013903
	s_and_b32 s82, s82, 0xffffff                               // 000000003458: 8652FF52 00FFFFFF
	v_mul_lo_u32 v6, v5, s82                                   // 000000003460: D2850006 0000A505
	v_readlane_b32 s82, v3, 29                                 // 000000003468: D2890052 00013B03
	s_and_b32 s82, s82, 0xffffff                               // 000000003470: 8652FF52 00FFFFFF
	v_mul_lo_u32 v7, v4, s82                                   // 000000003478: D2850007 0000A504
	v_add_u32_e32 v80, v6, v7                                  // 000000003480: 68A00F06
	v_mul_lo_u32 v80, v80, s68                                 // 000000003484: D2850050 00008950
	v_readlane_b32 s82, v3, 30                                 // 00000000348C: D2890052 00013D03
	s_and_b32 s82, s82, 0xffffff                               // 000000003494: 8652FF52 00FFFFFF
	v_mul_lo_u32 v6, v5, s82                                   // 00000000349C: D2850006 0000A505
	v_readlane_b32 s82, v3, 31                                 // 0000000034A4: D2890052 00013F03
	s_and_b32 s82, s82, 0xffffff                               // 0000000034AC: 8652FF52 00FFFFFF
	v_mul_lo_u32 v7, v4, s82                                   // 0000000034B4: D2850007 0000A504
	v_add_u32_e32 v81, v6, v7                                  // 0000000034BC: 68A20F06
	v_mul_lo_u32 v81, v81, s68                                 // 0000000034C0: D2850051 00008951
	v_readlane_b32 s82, v3, 32                                 // 0000000034C8: D2890052 00014103
	s_and_b32 s82, s82, 0xffffff                               // 0000000034D0: 8652FF52 00FFFFFF
	v_mul_lo_u32 v6, v5, s82                                   // 0000000034D8: D2850006 0000A505
	v_readlane_b32 s82, v3, 33                                 // 0000000034E0: D2890052 00014303
	s_and_b32 s82, s82, 0xffffff                               // 0000000034E8: 8652FF52 00FFFFFF
	v_mul_lo_u32 v7, v4, s82                                   // 0000000034F0: D2850007 0000A504
	v_add_u32_e32 v82, v6, v7                                  // 0000000034F8: 68A40F06
	v_mul_lo_u32 v82, v82, s68                                 // 0000000034FC: D2850052 00008952
	v_readlane_b32 s82, v3, 34                                 // 000000003504: D2890052 00014503
	s_and_b32 s82, s82, 0xffffff                               // 00000000350C: 8652FF52 00FFFFFF
	v_mul_lo_u32 v6, v5, s82                                   // 000000003514: D2850006 0000A505
	v_readlane_b32 s82, v3, 35                                 // 00000000351C: D2890052 00014703
	s_and_b32 s82, s82, 0xffffff                               // 000000003524: 8652FF52 00FFFFFF
	v_mul_lo_u32 v7, v4, s82                                   // 00000000352C: D2850007 0000A504
	v_add_u32_e32 v83, v6, v7                                  // 000000003534: 68A60F06
	v_mul_lo_u32 v83, v83, s68                                 // 000000003538: D2850053 00008953
	v_and_b32_e32 v4, 31, v0                                   // 000000003540: 2608009F
	v_lshlrev_b32_e32 v4, 2, v4                                // 000000003544: 24080882
	v_add_u32_e32 v66, v66, v4                                 // 000000003548: 68840942
	v_add_u32_e32 v67, v67, v4                                 // 00000000354C: 68860943
	v_add_u32_e32 v68, v68, v4                                 // 000000003550: 68880944
	v_add_u32_e32 v69, v69, v4                                 // 000000003554: 688A0945
	v_add_u32_e32 v70, v70, v4                                 // 000000003558: 688C0946
	v_add_u32_e32 v71, v71, v4                                 // 00000000355C: 688E0947
	v_add_u32_e32 v72, v72, v4                                 // 000000003560: 68900948
	v_add_u32_e32 v73, v73, v4                                 // 000000003564: 68920949
	v_add_u32_e32 v74, v74, v4                                 // 000000003568: 6894094A
	v_add_u32_e32 v75, v75, v4                                 // 00000000356C: 6896094B
	v_add_u32_e32 v76, v76, v4                                 // 000000003570: 6898094C
	v_add_u32_e32 v77, v77, v4                                 // 000000003574: 689A094D
	v_add_u32_e32 v78, v78, v4                                 // 000000003578: 689C094E
	v_add_u32_e32 v79, v79, v4                                 // 00000000357C: 689E094F
	v_add_u32_e32 v80, v80, v4                                 // 000000003580: 68A00950
	v_add_u32_e32 v81, v81, v4                                 // 000000003584: 68A20951
	v_add_u32_e32 v82, v82, v4                                 // 000000003588: 68A40952
	v_add_u32_e32 v83, v83, v4                                 // 00000000358C: 68A60953
	v_and_b32_e32 v30, 0xffffff, v30                           // 000000003590: 263C3CFF 00FFFFFF
	v_lshlrev_b32_e32 v30, 2, v30                              // 000000003598: 243C3C82
	v_and_b32_e32 v31, 0xffffff, v31                           // 00000000359C: 263E3EFF 00FFFFFF
	v_lshlrev_b32_e32 v31, 2, v31                              // 0000000035A4: 243E3E82
	v_and_b32_e32 v32, 0xffffff, v32                           // 0000000035A8: 264040FF 00FFFFFF
	v_lshlrev_b32_e32 v32, 2, v32                              // 0000000035B0: 24404082
	v_and_b32_e32 v33, 0xffffff, v33                           // 0000000035B4: 264242FF 00FFFFFF
	v_lshlrev_b32_e32 v33, 2, v33                              // 0000000035BC: 24424282
	v_and_b32_e32 v34, 0xffffff, v34                           // 0000000035C0: 264444FF 00FFFFFF
	v_lshlrev_b32_e32 v34, 2, v34                              // 0000000035C8: 24444482
	v_and_b32_e32 v35, 0xffffff, v35                           // 0000000035CC: 264646FF 00FFFFFF
	v_lshlrev_b32_e32 v35, 2, v35                              // 0000000035D4: 24464682
	v_and_b32_e32 v36, 0xffffff, v36                           // 0000000035D8: 264848FF 00FFFFFF
	v_lshlrev_b32_e32 v36, 2, v36                              // 0000000035E0: 24484882
	v_and_b32_e32 v37, 0xffffff, v37                           // 0000000035E4: 264A4AFF 00FFFFFF
	v_lshlrev_b32_e32 v37, 2, v37                              // 0000000035EC: 244A4A82
	v_and_b32_e32 v38, 0xffffff, v38                           // 0000000035F0: 264C4CFF 00FFFFFF
	v_lshlrev_b32_e32 v38, 2, v38                              // 0000000035F8: 244C4C82
	s_lshl_b32 s3, s66, 2                                      // 0000000035FC: 8E038242
	buffer_load_dword v39, v30, s[28:31], 0 offen              // 000000003600: E0501000 8007271E
	buffer_load_dword v40, v31, s[28:31], 0 offen              // 000000003608: E0501000 8007281F
	buffer_load_dword v41, v32, s[28:31], 0 offen              // 000000003610: E0501000 80072920
	buffer_load_dword v42, v33, s[28:31], 0 offen              // 000000003618: E0501000 80072A21
	buffer_load_dword v43, v34, s[28:31], 0 offen              // 000000003620: E0501000 80072B22
	buffer_load_dword v44, v35, s[28:31], 0 offen              // 000000003628: E0501000 80072C23
	buffer_load_dword v45, v36, s[28:31], 0 offen              // 000000003630: E0501000 80072D24
	buffer_load_dword v46, v37, s[28:31], 0 offen              // 000000003638: E0501000 80072E25
	buffer_load_dword v47, v38, s[28:31], 0 offen              // 000000003640: E0501000 80072F26
	buffer_load_dword v24, v22, s[32:35], 0 offen              // 000000003648: E0501000 80081816
	s_mul_i32 s60, 4, s65                                      // 000000003650: 923C4184
	s_add_u32 s32, s60, s32                                    // 000000003654: 8020203C
	s_addc_u32 s33, 0, s33                                     // 000000003658: 82212180
	buffer_load_dword v27, v22, s[32:35], 0 offen              // 00000000365C: E0501000 80081B16
	buffer_load_dword v66, s[20:23], 0 offen lds               // 000000003664: E0511000 80050042
	s_add_u32 m0, 0x100, s48                                   // 00000000366C: 807C30FF 00000100
	buffer_load_dword v67, s[20:23], 0 offen lds               // 000000003674: E0511000 80050043
	s_add_u32 m0, 0x200, s48                                   // 00000000367C: 807C30FF 00000200
	buffer_load_dword v68, s[20:23], 0 offen lds               // 000000003684: E0511000 80050044
	s_add_u32 m0, 0x300, s48                                   // 00000000368C: 807C30FF 00000300
	buffer_load_dword v69, s[20:23], 0 offen lds               // 000000003694: E0511000 80050045
	s_add_u32 m0, 0x400, s48                                   // 00000000369C: 807C30FF 00000400
	buffer_load_dword v70, s[20:23], 0 offen lds               // 0000000036A4: E0511000 80050046
	s_add_u32 m0, 0x500, s48                                   // 0000000036AC: 807C30FF 00000500
	buffer_load_dword v71, s[20:23], 0 offen lds               // 0000000036B4: E0511000 80050047
	s_add_u32 m0, 0x600, s48                                   // 0000000036BC: 807C30FF 00000600
	buffer_load_dword v72, s[20:23], 0 offen lds               // 0000000036C4: E0511000 80050048
	s_add_u32 m0, 0x700, s48                                   // 0000000036CC: 807C30FF 00000700
	buffer_load_dword v73, s[20:23], 0 offen lds               // 0000000036D4: E0511000 80050049
	s_add_u32 m0, 0x800, s48                                   // 0000000036DC: 807C30FF 00000800
	buffer_load_dword v74, s[20:23], 0 offen lds               // 0000000036E4: E0511000 8005004A
	s_add_u32 m0, 0x900, s48                                   // 0000000036EC: 807C30FF 00000900
	buffer_load_dword v75, s[20:23], 0 offen lds               // 0000000036F4: E0511000 8005004B
	s_add_u32 m0, 0xa00, s48                                   // 0000000036FC: 807C30FF 00000A00
	buffer_load_dword v76, s[20:23], 0 offen lds               // 000000003704: E0511000 8005004C
	s_add_u32 m0, 0xb00, s48                                   // 00000000370C: 807C30FF 00000B00
	buffer_load_dword v77, s[20:23], 0 offen lds               // 000000003714: E0511000 8005004D
	s_add_u32 m0, 0xc00, s48                                   // 00000000371C: 807C30FF 00000C00
	buffer_load_dword v78, s[20:23], 0 offen lds               // 000000003724: E0511000 8005004E
	s_add_u32 m0, 0xd00, s48                                   // 00000000372C: 807C30FF 00000D00
	buffer_load_dword v79, s[20:23], 0 offen lds               // 000000003734: E0511000 8005004F
	s_add_u32 m0, 0xe00, s48                                   // 00000000373C: 807C30FF 00000E00
	buffer_load_dword v80, s[20:23], 0 offen lds               // 000000003744: E0511000 80050050
	s_add_u32 m0, 0xf00, s48                                   // 00000000374C: 807C30FF 00000F00
	buffer_load_dword v81, s[20:23], 0 offen lds               // 000000003754: E0511000 80050051
	s_add_u32 m0, 0x1000, s48                                  // 00000000375C: 807C30FF 00001000
	buffer_load_dword v82, s[20:23], 0 offen lds               // 000000003764: E0511000 80050052
	s_add_u32 m0, 0x1100, s48                                  // 00000000376C: 807C30FF 00001100
	buffer_load_dword v83, s[20:23], 0 offen lds               // 000000003774: E0511000 80050053
	s_add_u32 m0, 0, s49                                       // 00000000377C: 807C3180
	s_add_u32 s20, s57, s20                                    // 000000003780: 80141439
	s_addc_u32 s21, 0, s21                                     // 000000003784: 82151580
	buffer_load_dwordx4 a[144:147], v84, s[24:27], 0 offen     // 000000003788: E05C1000 80869054
	buffer_load_dwordx4 a[148:151], v84, s[24:27], 0 offen offset:1024// 000000003790: E05C1400 80869454
	buffer_load_dwordx4 a[152:155], v85, s[24:27], 0 offen     // 000000003798: E05C1000 80869855
	buffer_load_dwordx4 a[156:159], v85, s[24:27], 0 offen offset:1024// 0000000037A0: E05C1400 80869C55
	s_add_u32 s24, s58, s24                                    // 0000000037A8: 8018183A
	s_addc_u32 s25, 0, s25                                     // 0000000037AC: 82191980
	buffer_load_dword v66, s[20:23], 0 offen lds               // 0000000037B0: E0511000 80050042
	s_add_u32 m0, 0x100, s49                                   // 0000000037B8: 807C31FF 00000100
	buffer_load_dword v67, s[20:23], 0 offen lds               // 0000000037C0: E0511000 80050043
	s_add_u32 m0, 0x200, s49                                   // 0000000037C8: 807C31FF 00000200
	buffer_load_dword v68, s[20:23], 0 offen lds               // 0000000037D0: E0511000 80050044
	s_add_u32 m0, 0x300, s49                                   // 0000000037D8: 807C31FF 00000300
	buffer_load_dword v69, s[20:23], 0 offen lds               // 0000000037E0: E0511000 80050045
	s_add_u32 m0, 0x400, s49                                   // 0000000037E8: 807C31FF 00000400
	buffer_load_dword v70, s[20:23], 0 offen lds               // 0000000037F0: E0511000 80050046
	s_add_u32 m0, 0x500, s49                                   // 0000000037F8: 807C31FF 00000500
	buffer_load_dword v71, s[20:23], 0 offen lds               // 000000003800: E0511000 80050047
	s_add_u32 m0, 0x600, s49                                   // 000000003808: 807C31FF 00000600
	buffer_load_dword v72, s[20:23], 0 offen lds               // 000000003810: E0511000 80050048
	s_add_u32 m0, 0x700, s49                                   // 000000003818: 807C31FF 00000700
	;; [unrolled: 2-line block ×3, first 2 shown]
	buffer_load_dword v74, s[20:23], 0 offen lds               // 000000003830: E0511000 8005004A
	s_add_u32 m0, 0x900, s49                                   // 000000003838: 807C31FF 00000900
	buffer_load_dword v75, s[20:23], 0 offen lds               // 000000003840: E0511000 8005004B
	s_add_u32 m0, 0xa00, s49                                   // 000000003848: 807C31FF 00000A00
	buffer_load_dword v76, s[20:23], 0 offen lds               // 000000003850: E0511000 8005004C
	s_add_u32 m0, 0xb00, s49                                   // 000000003858: 807C31FF 00000B00
	buffer_load_dword v77, s[20:23], 0 offen lds               // 000000003860: E0511000 8005004D
	s_add_u32 m0, 0xc00, s49                                   // 000000003868: 807C31FF 00000C00
	buffer_load_dword v78, s[20:23], 0 offen lds               // 000000003870: E0511000 8005004E
	s_add_u32 m0, 0xd00, s49                                   // 000000003878: 807C31FF 00000D00
	buffer_load_dword v79, s[20:23], 0 offen lds               // 000000003880: E0511000 8005004F
	s_add_u32 m0, 0xe00, s49                                   // 000000003888: 807C31FF 00000E00
	buffer_load_dword v80, s[20:23], 0 offen lds               // 000000003890: E0511000 80050050
	s_add_u32 m0, 0xf00, s49                                   // 000000003898: 807C31FF 00000F00
	buffer_load_dword v81, s[20:23], 0 offen lds               // 0000000038A0: E0511000 80050051
	s_add_u32 m0, 0x1000, s49                                  // 0000000038A8: 807C31FF 00001000
	buffer_load_dword v82, s[20:23], 0 offen lds               // 0000000038B0: E0511000 80050052
	s_add_u32 m0, 0x1100, s49                                  // 0000000038B8: 807C31FF 00001100
	buffer_load_dword v83, s[20:23], 0 offen lds               // 0000000038C0: E0511000 80050053
	s_add_u32 m0, 0, s50                                       // 0000000038C8: 807C3280
	s_add_u32 s20, s57, s20                                    // 0000000038CC: 80141439
	s_addc_u32 s21, 0, s21                                     // 0000000038D0: 82151580
	buffer_load_dwordx4 a[160:163], v84, s[84:87], 0 offen     // 0000000038D4: E05C1000 8095A054
	buffer_load_dwordx4 a[164:167], v84, s[84:87], 0 offen offset:1024// 0000000038DC: E05C1400 8095A454
	buffer_load_dwordx4 a[168:171], v85, s[84:87], 0 offen     // 0000000038E4: E05C1000 8095A855
	buffer_load_dwordx4 a[172:175], v85, s[84:87], 0 offen offset:1024// 0000000038EC: E05C1400 8095AC55
	s_add_u32 s84, s83, s84                                    // 0000000038F4: 80545453
	s_addc_u32 s85, 0, s85                                     // 0000000038F8: 82555580
	s_waitcnt vmcnt(26)                                        // 0000000038FC: BF8C4F7A
	s_barrier                                                  // 000000003900: BF8A0000
	ds_read_b128 a[0:3], v2                                    // 000000003904: DBFE0000 00000002
	ds_read_b128 a[4:7], v2 offset:64                          // 00000000390C: DBFE0040 04000002
	ds_read_b128 a[8:11], v2 offset:512                        // 000000003914: DBFE0200 08000002
	ds_read_b128 a[12:15], v2 offset:576                       // 00000000391C: DBFE0240 0C000002
	ds_read_b128 a[16:19], v2 offset:1024                      // 000000003924: DBFE0400 10000002
	ds_read_b128 a[20:23], v2 offset:1088                      // 00000000392C: DBFE0440 14000002
	ds_read_b128 a[24:27], v2 offset:1536                      // 000000003934: DBFE0600 18000002
	ds_read_b128 a[28:31], v2 offset:1600                      // 00000000393C: DBFE0640 1C000002
	ds_read_b128 a[32:35], v2 offset:2048                      // 000000003944: DBFE0800 20000002
	ds_read_b128 a[36:39], v2 offset:2112                      // 00000000394C: DBFE0840 24000002
	ds_read_b128 a[40:43], v2 offset:2560                      // 000000003954: DBFE0A00 28000002
	ds_read_b128 a[44:47], v2 offset:2624                      // 00000000395C: DBFE0A40 2C000002
	ds_read_b128 a[48:51], v2 offset:3072                      // 000000003964: DBFE0C00 30000002
	ds_read_b128 a[52:55], v2 offset:3136                      // 00000000396C: DBFE0C40 34000002
	ds_read_b128 a[56:59], v2 offset:3584                      // 000000003974: DBFE0E00 38000002
	ds_read_b128 a[60:63], v2 offset:3648                      // 00000000397C: DBFE0E40 3C000002
	ds_read_b128 a[64:67], v2 offset:4096                      // 000000003984: DBFE1000 40000002
	ds_read_b128 a[68:71], v2 offset:4160                      // 00000000398C: DBFE1040 44000002
	s_cmp_lt_i32 s7, 2                                         // 000000003994: BF048207
	s_cbranch_scc0 label_2400                                  // 000000003998: BF842016

000000000000399c <label_03E7>:
	s_waitcnt vmcnt(22) lgkmcnt(0)                             // 00000000399C: BF8C4076
	v_mfma_i32_16x16x32_i8 v[88:91], a[144:145], a[0:1], v[88:91]// 0000000039A0: D3D70058 1D620190
	v_mfma_i32_16x16x32_i8 v[88:91], a[146:147], a[2:3], v[88:91]// 0000000039A8: D3D70058 1D620592
	buffer_load_dwordx4 a[176:179], v84, s[24:27], 0 offen     // 0000000039B0: E05C1000 8086B054
	v_mfma_i32_16x16x32_i8 v[88:91], a[148:149], a[4:5], v[88:91]// 0000000039B8: D3D70058 1D620994
	v_mfma_i32_16x16x32_i8 v[88:91], a[150:151], a[6:7], v[88:91]// 0000000039C0: D3D70058 1D620D96
	v_mfma_i32_16x16x32_i8 v[124:127], a[152:153], a[0:1], v[124:127]// 0000000039C8: D3D7007C 1DF20198
	v_mfma_i32_16x16x32_i8 v[124:127], a[154:155], a[2:3], v[124:127]// 0000000039D0: D3D7007C 1DF2059A
	buffer_load_dwordx4 a[180:183], v84, s[24:27], 0 offen offset:1024// 0000000039D8: E05C1400 8086B454
	v_mfma_i32_16x16x32_i8 v[124:127], a[156:157], a[4:5], v[124:127]// 0000000039E0: D3D7007C 1DF2099C
	v_mfma_i32_16x16x32_i8 v[124:127], a[158:159], a[6:7], v[124:127]// 0000000039E8: D3D7007C 1DF20D9E
	v_mfma_i32_16x16x32_i8 v[92:95], a[144:145], a[8:9], v[92:95]// 0000000039F0: D3D7005C 1D721190
	v_mfma_i32_16x16x32_i8 v[92:95], a[146:147], a[10:11], v[92:95]// 0000000039F8: D3D7005C 1D721592
	buffer_load_dwordx4 a[184:187], v85, s[24:27], 0 offen     // 000000003A00: E05C1000 8086B855
	v_mfma_i32_16x16x32_i8 v[92:95], a[148:149], a[12:13], v[92:95]// 000000003A08: D3D7005C 1D721994
	v_mfma_i32_16x16x32_i8 v[92:95], a[150:151], a[14:15], v[92:95]// 000000003A10: D3D7005C 1D721D96
	v_mfma_i32_16x16x32_i8 v[128:131], a[152:153], a[8:9], v[128:131]// 000000003A18: D3D70080 1E021198
	v_mfma_i32_16x16x32_i8 v[128:131], a[154:155], a[10:11], v[128:131]// 000000003A20: D3D70080 1E02159A
	buffer_load_dwordx4 a[188:191], v85, s[24:27], 0 offen offset:1024// 000000003A28: E05C1400 8086BC55
	buffer_load_dword v66, s[20:23], 0 offen lds               // 000000003A30: E0511000 80050042
	s_add_u32 m0, 0x100, s50                                   // 000000003A38: 807C32FF 00000100
	v_mfma_i32_16x16x32_i8 v[128:131], a[156:157], a[12:13], v[128:131]// 000000003A40: D3D70080 1E02199C
	v_mfma_i32_16x16x32_i8 v[128:131], a[158:159], a[14:15], v[128:131]// 000000003A48: D3D70080 1E021D9E
	buffer_load_dword v67, s[20:23], 0 offen lds               // 000000003A50: E0511000 80050043
	s_add_u32 m0, 0x200, s50                                   // 000000003A58: 807C32FF 00000200
	v_mfma_i32_16x16x32_i8 v[96:99], a[144:145], a[16:17], v[96:99]// 000000003A60: D3D70060 1D822190
	v_mfma_i32_16x16x32_i8 v[96:99], a[146:147], a[18:19], v[96:99]// 000000003A68: D3D70060 1D822592
	buffer_load_dword v68, s[20:23], 0 offen lds               // 000000003A70: E0511000 80050044
	s_add_u32 m0, 0x300, s50                                   // 000000003A78: 807C32FF 00000300
	v_mfma_i32_16x16x32_i8 v[96:99], a[148:149], a[20:21], v[96:99]// 000000003A80: D3D70060 1D822994
	v_mfma_i32_16x16x32_i8 v[96:99], a[150:151], a[22:23], v[96:99]// 000000003A88: D3D70060 1D822D96
	buffer_load_dword v69, s[20:23], 0 offen lds               // 000000003A90: E0511000 80050045
	s_add_u32 m0, 0x400, s50                                   // 000000003A98: 807C32FF 00000400
	v_mfma_i32_16x16x32_i8 v[132:135], a[152:153], a[16:17], v[132:135]// 000000003AA0: D3D70084 1E122198
	v_mfma_i32_16x16x32_i8 v[132:135], a[154:155], a[18:19], v[132:135]// 000000003AA8: D3D70084 1E12259A
	buffer_load_dword v70, s[20:23], 0 offen lds               // 000000003AB0: E0511000 80050046
	s_add_u32 m0, 0x500, s50                                   // 000000003AB8: 807C32FF 00000500
	v_mfma_i32_16x16x32_i8 v[132:135], a[156:157], a[20:21], v[132:135]// 000000003AC0: D3D70084 1E12299C
	v_mfma_i32_16x16x32_i8 v[132:135], a[158:159], a[22:23], v[132:135]// 000000003AC8: D3D70084 1E122D9E
	buffer_load_dword v71, s[20:23], 0 offen lds               // 000000003AD0: E0511000 80050047
	s_add_u32 m0, 0x600, s50                                   // 000000003AD8: 807C32FF 00000600
	v_mfma_i32_16x16x32_i8 v[100:103], a[144:145], a[24:25], v[100:103]// 000000003AE0: D3D70064 1D923190
	v_mfma_i32_16x16x32_i8 v[100:103], a[146:147], a[26:27], v[100:103]// 000000003AE8: D3D70064 1D923592
	buffer_load_dword v72, s[20:23], 0 offen lds               // 000000003AF0: E0511000 80050048
	s_add_u32 m0, 0x700, s50                                   // 000000003AF8: 807C32FF 00000700
	v_mfma_i32_16x16x32_i8 v[100:103], a[148:149], a[28:29], v[100:103]// 000000003B00: D3D70064 1D923994
	v_mfma_i32_16x16x32_i8 v[100:103], a[150:151], a[30:31], v[100:103]// 000000003B08: D3D70064 1D923D96
	buffer_load_dword v73, s[20:23], 0 offen lds               // 000000003B10: E0511000 80050049
	s_add_u32 m0, 0x800, s50                                   // 000000003B18: 807C32FF 00000800
	v_mfma_i32_16x16x32_i8 v[136:139], a[152:153], a[24:25], v[136:139]// 000000003B20: D3D70088 1E223198
	v_mfma_i32_16x16x32_i8 v[136:139], a[154:155], a[26:27], v[136:139]// 000000003B28: D3D70088 1E22359A
	buffer_load_dword v74, s[20:23], 0 offen lds               // 000000003B30: E0511000 8005004A
	s_add_u32 m0, 0x900, s50                                   // 000000003B38: 807C32FF 00000900
	v_mfma_i32_16x16x32_i8 v[136:139], a[156:157], a[28:29], v[136:139]// 000000003B40: D3D70088 1E22399C
	v_mfma_i32_16x16x32_i8 v[136:139], a[158:159], a[30:31], v[136:139]// 000000003B48: D3D70088 1E223D9E
	buffer_load_dword v75, s[20:23], 0 offen lds               // 000000003B50: E0511000 8005004B
	s_add_u32 m0, 0xa00, s50                                   // 000000003B58: 807C32FF 00000A00
	v_mfma_i32_16x16x32_i8 v[104:107], a[144:145], a[32:33], v[104:107]// 000000003B60: D3D70068 1DA24190
	v_mfma_i32_16x16x32_i8 v[104:107], a[146:147], a[34:35], v[104:107]// 000000003B68: D3D70068 1DA24592
	buffer_load_dword v76, s[20:23], 0 offen lds               // 000000003B70: E0511000 8005004C
	s_add_u32 m0, 0xb00, s50                                   // 000000003B78: 807C32FF 00000B00
	v_mfma_i32_16x16x32_i8 v[104:107], a[148:149], a[36:37], v[104:107]// 000000003B80: D3D70068 1DA24994
	v_mfma_i32_16x16x32_i8 v[104:107], a[150:151], a[38:39], v[104:107]// 000000003B88: D3D70068 1DA24D96
	buffer_load_dword v77, s[20:23], 0 offen lds               // 000000003B90: E0511000 8005004D
	s_add_u32 m0, 0xc00, s50                                   // 000000003B98: 807C32FF 00000C00
	v_mfma_i32_16x16x32_i8 v[140:143], a[152:153], a[32:33], v[140:143]// 000000003BA0: D3D7008C 1E324198
	v_mfma_i32_16x16x32_i8 v[140:143], a[154:155], a[34:35], v[140:143]// 000000003BA8: D3D7008C 1E32459A
	buffer_load_dword v78, s[20:23], 0 offen lds               // 000000003BB0: E0511000 8005004E
	s_add_u32 m0, 0xd00, s50                                   // 000000003BB8: 807C32FF 00000D00
	v_mfma_i32_16x16x32_i8 v[140:143], a[156:157], a[36:37], v[140:143]// 000000003BC0: D3D7008C 1E32499C
	v_mfma_i32_16x16x32_i8 v[140:143], a[158:159], a[38:39], v[140:143]// 000000003BC8: D3D7008C 1E324D9E
	buffer_load_dword v79, s[20:23], 0 offen lds               // 000000003BD0: E0511000 8005004F
	s_add_u32 m0, 0xe00, s50                                   // 000000003BD8: 807C32FF 00000E00
	v_mfma_i32_16x16x32_i8 v[108:111], a[144:145], a[40:41], v[108:111]// 000000003BE0: D3D7006C 1DB25190
	v_mfma_i32_16x16x32_i8 v[108:111], a[146:147], a[42:43], v[108:111]// 000000003BE8: D3D7006C 1DB25592
	buffer_load_dword v80, s[20:23], 0 offen lds               // 000000003BF0: E0511000 80050050
	s_add_u32 m0, 0xf00, s50                                   // 000000003BF8: 807C32FF 00000F00
	v_mfma_i32_16x16x32_i8 v[108:111], a[148:149], a[44:45], v[108:111]// 000000003C00: D3D7006C 1DB25994
	v_mfma_i32_16x16x32_i8 v[108:111], a[150:151], a[46:47], v[108:111]// 000000003C08: D3D7006C 1DB25D96
	buffer_load_dword v81, s[20:23], 0 offen lds               // 000000003C10: E0511000 80050051
	s_add_u32 m0, 0x1000, s50                                  // 000000003C18: 807C32FF 00001000
	v_mfma_i32_16x16x32_i8 v[144:147], a[152:153], a[40:41], v[144:147]// 000000003C20: D3D70090 1E425198
	v_mfma_i32_16x16x32_i8 v[144:147], a[154:155], a[42:43], v[144:147]// 000000003C28: D3D70090 1E42559A
	buffer_load_dword v82, s[20:23], 0 offen lds               // 000000003C30: E0511000 80050052
	s_add_u32 m0, 0x1100, s50                                  // 000000003C38: 807C32FF 00001100
	v_mfma_i32_16x16x32_i8 v[144:147], a[156:157], a[44:45], v[144:147]// 000000003C40: D3D70090 1E42599C
	v_mfma_i32_16x16x32_i8 v[144:147], a[158:159], a[46:47], v[144:147]// 000000003C48: D3D70090 1E425D9E
	buffer_load_dword v83, s[20:23], 0 offen lds               // 000000003C50: E0511000 80050053
	s_add_u32 m0, 0, s48                                       // 000000003C58: 807C3080
	v_mfma_i32_16x16x32_i8 v[112:115], a[144:145], a[48:49], v[112:115]// 000000003C5C: D3D70070 1DC26190
	v_mfma_i32_16x16x32_i8 v[112:115], a[146:147], a[50:51], v[112:115]// 000000003C64: D3D70070 1DC26592
	v_mfma_i32_16x16x32_i8 v[112:115], a[148:149], a[52:53], v[112:115]// 000000003C6C: D3D70070 1DC26994
	v_mfma_i32_16x16x32_i8 v[112:115], a[150:151], a[54:55], v[112:115]// 000000003C74: D3D70070 1DC26D96
	v_mfma_i32_16x16x32_i8 v[148:151], a[152:153], a[48:49], v[148:151]// 000000003C7C: D3D70094 1E526198
	v_mfma_i32_16x16x32_i8 v[148:151], a[154:155], a[50:51], v[148:151]// 000000003C84: D3D70094 1E52659A
	v_mfma_i32_16x16x32_i8 v[148:151], a[156:157], a[52:53], v[148:151]// 000000003C8C: D3D70094 1E52699C
	v_mfma_i32_16x16x32_i8 v[148:151], a[158:159], a[54:55], v[148:151]// 000000003C94: D3D70094 1E526D9E
	v_mfma_i32_16x16x32_i8 v[116:119], a[144:145], a[56:57], v[116:119]// 000000003C9C: D3D70074 1DD27190
	v_mfma_i32_16x16x32_i8 v[116:119], a[146:147], a[58:59], v[116:119]// 000000003CA4: D3D70074 1DD27592
	v_mfma_i32_16x16x32_i8 v[116:119], a[148:149], a[60:61], v[116:119]// 000000003CAC: D3D70074 1DD27994
	v_mfma_i32_16x16x32_i8 v[116:119], a[150:151], a[62:63], v[116:119]// 000000003CB4: D3D70074 1DD27D96
	v_mfma_i32_16x16x32_i8 v[152:155], a[152:153], a[56:57], v[152:155]// 000000003CBC: D3D70098 1E627198
	v_mfma_i32_16x16x32_i8 v[152:155], a[154:155], a[58:59], v[152:155]// 000000003CC4: D3D70098 1E62759A
	v_mfma_i32_16x16x32_i8 v[152:155], a[156:157], a[60:61], v[152:155]// 000000003CCC: D3D70098 1E62799C
	v_mfma_i32_16x16x32_i8 v[152:155], a[158:159], a[62:63], v[152:155]// 000000003CD4: D3D70098 1E627D9E
	v_mfma_i32_16x16x32_i8 v[120:123], a[144:145], a[64:65], v[120:123]// 000000003CDC: D3D70078 1DE28190
	v_mfma_i32_16x16x32_i8 v[120:123], a[146:147], a[66:67], v[120:123]// 000000003CE4: D3D70078 1DE28592
	v_mfma_i32_16x16x32_i8 v[120:123], a[148:149], a[68:69], v[120:123]// 000000003CEC: D3D70078 1DE28994
	v_mfma_i32_16x16x32_i8 v[120:123], a[150:151], a[70:71], v[120:123]// 000000003CF4: D3D70078 1DE28D96
	v_mfma_i32_16x16x32_i8 v[156:159], a[152:153], a[64:65], v[156:159]// 000000003CFC: D3D7009C 1E728198
	v_mfma_i32_16x16x32_i8 v[156:159], a[154:155], a[66:67], v[156:159]// 000000003D04: D3D7009C 1E72859A
	v_mfma_i32_16x16x32_i8 v[156:159], a[156:157], a[68:69], v[156:159]// 000000003D0C: D3D7009C 1E72899C
	v_mfma_i32_16x16x32_i8 v[156:159], a[158:159], a[70:71], v[156:159]// 000000003D14: D3D7009C 1E728D9E
	s_waitcnt vmcnt(22)                                        // 000000003D1C: BF8C4F76
	s_barrier                                                  // 000000003D20: BF8A0000
	v_mfma_i32_16x16x32_i8 v[160:163], a[160:161], a[0:1], v[160:163]// 000000003D24: D3D700A0 1E8201A0
	v_mfma_i32_16x16x32_i8 v[160:163], a[162:163], a[2:3], v[160:163]// 000000003D2C: D3D700A0 1E8205A2
	buffer_load_dwordx4 a[144:147], v84, s[84:87], 0 offen     // 000000003D34: E05C1000 80959054
	v_mfma_i32_16x16x32_i8 v[160:163], a[164:165], a[4:5], v[160:163]// 000000003D3C: D3D700A0 1E8209A4
	v_mfma_i32_16x16x32_i8 v[160:163], a[166:167], a[6:7], v[160:163]// 000000003D44: D3D700A0 1E820DA6
	ds_read_b128 a[72:75], v2 offset:18560                     // 000000003D4C: DBFE4880 48000002
	ds_read_b128 a[76:79], v2 offset:18624                     // 000000003D54: DBFE48C0 4C000002
	v_mfma_i32_16x16x32_i8 v[196:199], a[168:169], a[0:1], v[196:199]// 000000003D5C: D3D700C4 1F1201A8
	v_mfma_i32_16x16x32_i8 v[196:199], a[170:171], a[2:3], v[196:199]// 000000003D64: D3D700C4 1F1205AA
	buffer_load_dwordx4 a[148:151], v84, s[84:87], 0 offen offset:1024// 000000003D6C: E05C1400 80959454
	v_mfma_i32_16x16x32_i8 v[196:199], a[172:173], a[4:5], v[196:199]// 000000003D74: D3D700C4 1F1209AC
	v_mfma_i32_16x16x32_i8 v[196:199], a[174:175], a[6:7], v[196:199]// 000000003D7C: D3D700C4 1F120DAE
	ds_read_b128 a[80:83], v2 offset:19072                     // 000000003D84: DBFE4A80 50000002
	ds_read_b128 a[84:87], v2 offset:19136                     // 000000003D8C: DBFE4AC0 54000002
	v_mfma_i32_16x16x32_i8 v[164:167], a[160:161], a[8:9], v[164:167]// 000000003D94: D3D700A4 1E9211A0
	v_mfma_i32_16x16x32_i8 v[164:167], a[162:163], a[10:11], v[164:167]// 000000003D9C: D3D700A4 1E9215A2
	buffer_load_dwordx4 a[152:155], v85, s[84:87], 0 offen     // 000000003DA4: E05C1000 80959855
	v_mfma_i32_16x16x32_i8 v[164:167], a[164:165], a[12:13], v[164:167]// 000000003DAC: D3D700A4 1E9219A4
	v_mfma_i32_16x16x32_i8 v[164:167], a[166:167], a[14:15], v[164:167]// 000000003DB4: D3D700A4 1E921DA6
	ds_read_b128 a[88:91], v2 offset:19584                     // 000000003DBC: DBFE4C80 58000002
	ds_read_b128 a[92:95], v2 offset:19648                     // 000000003DC4: DBFE4CC0 5C000002
	v_mfma_i32_16x16x32_i8 v[200:203], a[168:169], a[8:9], v[200:203]// 000000003DCC: D3D700C8 1F2211A8
	v_mfma_i32_16x16x32_i8 v[200:203], a[170:171], a[10:11], v[200:203]// 000000003DD4: D3D700C8 1F2215AA
	buffer_load_dwordx4 a[156:159], v85, s[84:87], 0 offen offset:1024// 000000003DDC: E05C1400 80959C55
	v_mfma_i32_16x16x32_i8 v[200:203], a[172:173], a[12:13], v[200:203]// 000000003DE4: D3D700C8 1F2219AC
	v_mfma_i32_16x16x32_i8 v[200:203], a[174:175], a[14:15], v[200:203]// 000000003DEC: D3D700C8 1F221DAE
	ds_read_b128 a[96:99], v2 offset:20096                     // 000000003DF4: DBFE4E80 60000002
	ds_read_b128 a[100:103], v2 offset:20160                   // 000000003DFC: DBFE4EC0 64000002
	v_mfma_i32_16x16x32_i8 v[168:171], a[160:161], a[16:17], v[168:171]// 000000003E04: D3D700A8 1EA221A0
	v_mfma_i32_16x16x32_i8 v[168:171], a[162:163], a[18:19], v[168:171]// 000000003E0C: D3D700A8 1EA225A2
	v_mfma_i32_16x16x32_i8 v[168:171], a[164:165], a[20:21], v[168:171]// 000000003E14: D3D700A8 1EA229A4
	v_mfma_i32_16x16x32_i8 v[168:171], a[166:167], a[22:23], v[168:171]// 000000003E1C: D3D700A8 1EA22DA6
	ds_read_b128 a[104:107], v2 offset:20608                   // 000000003E24: DBFE5080 68000002
	ds_read_b128 a[108:111], v2 offset:20672                   // 000000003E2C: DBFE50C0 6C000002
	v_mfma_i32_16x16x32_i8 v[204:207], a[168:169], a[16:17], v[204:207]// 000000003E34: D3D700CC 1F3221A8
	v_mfma_i32_16x16x32_i8 v[204:207], a[170:171], a[18:19], v[204:207]// 000000003E3C: D3D700CC 1F3225AA
	v_mfma_i32_16x16x32_i8 v[204:207], a[172:173], a[20:21], v[204:207]// 000000003E44: D3D700CC 1F3229AC
	v_mfma_i32_16x16x32_i8 v[204:207], a[174:175], a[22:23], v[204:207]// 000000003E4C: D3D700CC 1F322DAE
	ds_read_b128 a[112:115], v2 offset:21120                   // 000000003E54: DBFE5280 70000002
	ds_read_b128 a[116:119], v2 offset:21184                   // 000000003E5C: DBFE52C0 74000002
	v_mfma_i32_16x16x32_i8 v[172:175], a[160:161], a[24:25], v[172:175]// 000000003E64: D3D700AC 1EB231A0
	v_mfma_i32_16x16x32_i8 v[172:175], a[162:163], a[26:27], v[172:175]// 000000003E6C: D3D700AC 1EB235A2
	v_mfma_i32_16x16x32_i8 v[172:175], a[164:165], a[28:29], v[172:175]// 000000003E74: D3D700AC 1EB239A4
	v_mfma_i32_16x16x32_i8 v[172:175], a[166:167], a[30:31], v[172:175]// 000000003E7C: D3D700AC 1EB23DA6
	ds_read_b128 a[120:123], v2 offset:21632                   // 000000003E84: DBFE5480 78000002
	ds_read_b128 a[124:127], v2 offset:21696                   // 000000003E8C: DBFE54C0 7C000002
	v_mfma_i32_16x16x32_i8 v[208:211], a[168:169], a[24:25], v[208:211]// 000000003E94: D3D700D0 1F4231A8
	v_mfma_i32_16x16x32_i8 v[208:211], a[170:171], a[26:27], v[208:211]// 000000003E9C: D3D700D0 1F4235AA
	v_mfma_i32_16x16x32_i8 v[208:211], a[172:173], a[28:29], v[208:211]// 000000003EA4: D3D700D0 1F4239AC
	v_mfma_i32_16x16x32_i8 v[208:211], a[174:175], a[30:31], v[208:211]// 000000003EAC: D3D700D0 1F423DAE
	ds_read_b128 a[128:131], v2 offset:22144                   // 000000003EB4: DBFE5680 80000002
	ds_read_b128 a[132:135], v2 offset:22208                   // 000000003EBC: DBFE56C0 84000002
	v_mfma_i32_16x16x32_i8 v[176:179], a[160:161], a[32:33], v[176:179]// 000000003EC4: D3D700B0 1EC241A0
	v_mfma_i32_16x16x32_i8 v[176:179], a[162:163], a[34:35], v[176:179]// 000000003ECC: D3D700B0 1EC245A2
	v_mfma_i32_16x16x32_i8 v[176:179], a[164:165], a[36:37], v[176:179]// 000000003ED4: D3D700B0 1EC249A4
	v_mfma_i32_16x16x32_i8 v[176:179], a[166:167], a[38:39], v[176:179]// 000000003EDC: D3D700B0 1EC24DA6
	ds_read_b128 a[136:139], v2 offset:22656                   // 000000003EE4: DBFE5880 88000002
	ds_read_b128 a[140:143], v2 offset:22720                   // 000000003EEC: DBFE58C0 8C000002
	v_mfma_i32_16x16x32_i8 v[212:215], a[168:169], a[32:33], v[212:215]// 000000003EF4: D3D700D4 1F5241A8
	v_mfma_i32_16x16x32_i8 v[212:215], a[170:171], a[34:35], v[212:215]// 000000003EFC: D3D700D4 1F5245AA
	v_mfma_i32_16x16x32_i8 v[212:215], a[172:173], a[36:37], v[212:215]// 000000003F04: D3D700D4 1F5249AC
	v_mfma_i32_16x16x32_i8 v[212:215], a[174:175], a[38:39], v[212:215]// 000000003F0C: D3D700D4 1F524DAE
	v_mfma_i32_16x16x32_i8 v[180:183], a[160:161], a[40:41], v[180:183]// 000000003F14: D3D700B4 1ED251A0
	v_mfma_i32_16x16x32_i8 v[180:183], a[162:163], a[42:43], v[180:183]// 000000003F1C: D3D700B4 1ED255A2
	v_mfma_i32_16x16x32_i8 v[180:183], a[164:165], a[44:45], v[180:183]// 000000003F24: D3D700B4 1ED259A4
	v_mfma_i32_16x16x32_i8 v[180:183], a[166:167], a[46:47], v[180:183]// 000000003F2C: D3D700B4 1ED25DA6
	v_mfma_i32_16x16x32_i8 v[216:219], a[168:169], a[40:41], v[216:219]// 000000003F34: D3D700D8 1F6251A8
	v_mfma_i32_16x16x32_i8 v[216:219], a[170:171], a[42:43], v[216:219]// 000000003F3C: D3D700D8 1F6255AA
	v_mfma_i32_16x16x32_i8 v[216:219], a[172:173], a[44:45], v[216:219]// 000000003F44: D3D700D8 1F6259AC
	v_mfma_i32_16x16x32_i8 v[216:219], a[174:175], a[46:47], v[216:219]// 000000003F4C: D3D700D8 1F625DAE
	v_mfma_i32_16x16x32_i8 v[184:187], a[160:161], a[48:49], v[184:187]// 000000003F54: D3D700B8 1EE261A0
	v_mfma_i32_16x16x32_i8 v[184:187], a[162:163], a[50:51], v[184:187]// 000000003F5C: D3D700B8 1EE265A2
	v_mfma_i32_16x16x32_i8 v[184:187], a[164:165], a[52:53], v[184:187]// 000000003F64: D3D700B8 1EE269A4
	v_mfma_i32_16x16x32_i8 v[184:187], a[166:167], a[54:55], v[184:187]// 000000003F6C: D3D700B8 1EE26DA6
	v_mfma_i32_16x16x32_i8 v[220:223], a[168:169], a[48:49], v[220:223]// 000000003F74: D3D700DC 1F7261A8
	v_mfma_i32_16x16x32_i8 v[220:223], a[170:171], a[50:51], v[220:223]// 000000003F7C: D3D700DC 1F7265AA
	v_mfma_i32_16x16x32_i8 v[220:223], a[172:173], a[52:53], v[220:223]// 000000003F84: D3D700DC 1F7269AC
	v_mfma_i32_16x16x32_i8 v[220:223], a[174:175], a[54:55], v[220:223]// 000000003F8C: D3D700DC 1F726DAE
	v_mfma_i32_16x16x32_i8 v[188:191], a[160:161], a[56:57], v[188:191]// 000000003F94: D3D700BC 1EF271A0
	v_mfma_i32_16x16x32_i8 v[188:191], a[162:163], a[58:59], v[188:191]// 000000003F9C: D3D700BC 1EF275A2
	v_mfma_i32_16x16x32_i8 v[188:191], a[164:165], a[60:61], v[188:191]// 000000003FA4: D3D700BC 1EF279A4
	v_mfma_i32_16x16x32_i8 v[188:191], a[166:167], a[62:63], v[188:191]// 000000003FAC: D3D700BC 1EF27DA6
	v_mfma_i32_16x16x32_i8 v[224:227], a[168:169], a[56:57], v[224:227]// 000000003FB4: D3D700E0 1F8271A8
	v_mfma_i32_16x16x32_i8 v[224:227], a[170:171], a[58:59], v[224:227]// 000000003FBC: D3D700E0 1F8275AA
	v_mfma_i32_16x16x32_i8 v[224:227], a[172:173], a[60:61], v[224:227]// 000000003FC4: D3D700E0 1F8279AC
	v_mfma_i32_16x16x32_i8 v[224:227], a[174:175], a[62:63], v[224:227]// 000000003FCC: D3D700E0 1F827DAE
	v_mfma_i32_16x16x32_i8 v[192:195], a[160:161], a[64:65], v[192:195]// 000000003FD4: D3D700C0 1F0281A0
	s_add_u32 s60, 0x180, s80                                  // 000000003FDC: 803C50FF 00000180
	s_cmp_lt_u32 s60, s81                                      // 000000003FE4: BF0A513C
	s_cselect_b32 s57, s57, 0                                  // 000000003FE8: 85398039
	v_mfma_i32_16x16x32_i8 v[192:195], a[162:163], a[66:67], v[192:195]// 000000003FEC: D3D700C0 1F0285A2
	s_add_u32 s60, 0x100, s80                                  // 000000003FF4: 803C50FF 00000100
	s_cmp_lt_u32 s60, s81                                      // 000000003FFC: BF0A513C
	s_cselect_b32 s58, s58, 0                                  // 000000004000: 853A803A
	v_mfma_i32_16x16x32_i8 v[192:195], a[164:165], a[68:69], v[192:195]// 000000004004: D3D700C0 1F0289A4
	s_add_u32 s60, 0x100, s80                                  // 00000000400C: 803C50FF 00000100
	s_cmp_lt_u32 s60, s81                                      // 000000004014: BF0A513C
	s_cselect_b32 s83, s83, 0                                  // 000000004018: 85538053
	v_mfma_i32_16x16x32_i8 v[192:195], a[166:167], a[70:71], v[192:195]// 00000000401C: D3D700C0 1F028DA6
	s_add_u32 s24, s58, s24                                    // 000000004024: 8018183A
	s_addc_u32 s25, 0, s25                                     // 000000004028: 82191980
	v_mfma_i32_16x16x32_i8 v[228:231], a[168:169], a[64:65], v[228:231]// 00000000402C: D3D700E4 1F9281A8
	s_add_u32 s20, s57, s20                                    // 000000004034: 80141439
	s_addc_u32 s21, 0, s21                                     // 000000004038: 82151580
	v_mfma_i32_16x16x32_i8 v[228:231], a[170:171], a[66:67], v[228:231]// 00000000403C: D3D700E4 1F9285AA
	s_add_u32 s84, s83, s84                                    // 000000004044: 80545453
	s_addc_u32 s85, 0, s85                                     // 000000004048: 82555580
	v_mfma_i32_16x16x32_i8 v[228:231], a[172:173], a[68:69], v[228:231]// 00000000404C: D3D700E4 1F9289AC
	v_mfma_i32_16x16x32_i8 v[228:231], a[174:175], a[70:71], v[228:231]// 000000004054: D3D700E4 1F928DAE
	s_addk_i32 s80, 0x80                                       // 00000000405C: B7500080
	s_cmp_lt_i32 s80, s81                                      // 000000004060: BF045150
	s_cbranch_scc0 label_0E1A                                  // 000000004064: BF840880
	s_waitcnt vmcnt(22) lgkmcnt(0)                             // 000000004068: BF8C4076
	v_mfma_i32_16x16x32_i8 v[88:91], a[176:177], a[72:73], v[88:91]// 00000000406C: D3D70058 1D6291B0
	v_mfma_i32_16x16x32_i8 v[88:91], a[178:179], a[74:75], v[88:91]// 000000004074: D3D70058 1D6295B2
	buffer_load_dwordx4 a[160:163], v84, s[24:27], 0 offen     // 00000000407C: E05C1000 8086A054
	v_mfma_i32_16x16x32_i8 v[88:91], a[180:181], a[76:77], v[88:91]// 000000004084: D3D70058 1D6299B4
	v_mfma_i32_16x16x32_i8 v[88:91], a[182:183], a[78:79], v[88:91]// 00000000408C: D3D70058 1D629DB6
	v_mfma_i32_16x16x32_i8 v[124:127], a[184:185], a[72:73], v[124:127]// 000000004094: D3D7007C 1DF291B8
	v_mfma_i32_16x16x32_i8 v[124:127], a[186:187], a[74:75], v[124:127]// 00000000409C: D3D7007C 1DF295BA
	buffer_load_dwordx4 a[164:167], v84, s[24:27], 0 offen offset:1024// 0000000040A4: E05C1400 8086A454
	v_mfma_i32_16x16x32_i8 v[124:127], a[188:189], a[76:77], v[124:127]// 0000000040AC: D3D7007C 1DF299BC
	v_mfma_i32_16x16x32_i8 v[124:127], a[190:191], a[78:79], v[124:127]// 0000000040B4: D3D7007C 1DF29DBE
	v_mfma_i32_16x16x32_i8 v[92:95], a[176:177], a[80:81], v[92:95]// 0000000040BC: D3D7005C 1D72A1B0
	v_mfma_i32_16x16x32_i8 v[92:95], a[178:179], a[82:83], v[92:95]// 0000000040C4: D3D7005C 1D72A5B2
	buffer_load_dwordx4 a[168:171], v85, s[24:27], 0 offen     // 0000000040CC: E05C1000 8086A855
	v_mfma_i32_16x16x32_i8 v[92:95], a[180:181], a[84:85], v[92:95]// 0000000040D4: D3D7005C 1D72A9B4
	v_mfma_i32_16x16x32_i8 v[92:95], a[182:183], a[86:87], v[92:95]// 0000000040DC: D3D7005C 1D72ADB6
	v_mfma_i32_16x16x32_i8 v[128:131], a[184:185], a[80:81], v[128:131]// 0000000040E4: D3D70080 1E02A1B8
	v_mfma_i32_16x16x32_i8 v[128:131], a[186:187], a[82:83], v[128:131]// 0000000040EC: D3D70080 1E02A5BA
	buffer_load_dwordx4 a[172:175], v85, s[24:27], 0 offen offset:1024// 0000000040F4: E05C1400 8086AC55
	buffer_load_dword v66, s[20:23], 0 offen lds               // 0000000040FC: E0511000 80050042
	s_add_u32 m0, 0x100, s48                                   // 000000004104: 807C30FF 00000100
	v_mfma_i32_16x16x32_i8 v[128:131], a[188:189], a[84:85], v[128:131]// 00000000410C: D3D70080 1E02A9BC
	v_mfma_i32_16x16x32_i8 v[128:131], a[190:191], a[86:87], v[128:131]// 000000004114: D3D70080 1E02ADBE
	buffer_load_dword v67, s[20:23], 0 offen lds               // 00000000411C: E0511000 80050043
	s_add_u32 m0, 0x200, s48                                   // 000000004124: 807C30FF 00000200
	v_mfma_i32_16x16x32_i8 v[96:99], a[176:177], a[88:89], v[96:99]// 00000000412C: D3D70060 1D82B1B0
	v_mfma_i32_16x16x32_i8 v[96:99], a[178:179], a[90:91], v[96:99]// 000000004134: D3D70060 1D82B5B2
	buffer_load_dword v68, s[20:23], 0 offen lds               // 00000000413C: E0511000 80050044
	s_add_u32 m0, 0x300, s48                                   // 000000004144: 807C30FF 00000300
	v_mfma_i32_16x16x32_i8 v[96:99], a[180:181], a[92:93], v[96:99]// 00000000414C: D3D70060 1D82B9B4
	v_mfma_i32_16x16x32_i8 v[96:99], a[182:183], a[94:95], v[96:99]// 000000004154: D3D70060 1D82BDB6
	buffer_load_dword v69, s[20:23], 0 offen lds               // 00000000415C: E0511000 80050045
	s_add_u32 m0, 0x400, s48                                   // 000000004164: 807C30FF 00000400
	v_mfma_i32_16x16x32_i8 v[132:135], a[184:185], a[88:89], v[132:135]// 00000000416C: D3D70084 1E12B1B8
	v_mfma_i32_16x16x32_i8 v[132:135], a[186:187], a[90:91], v[132:135]// 000000004174: D3D70084 1E12B5BA
	buffer_load_dword v70, s[20:23], 0 offen lds               // 00000000417C: E0511000 80050046
	s_add_u32 m0, 0x500, s48                                   // 000000004184: 807C30FF 00000500
	v_mfma_i32_16x16x32_i8 v[132:135], a[188:189], a[92:93], v[132:135]// 00000000418C: D3D70084 1E12B9BC
	v_mfma_i32_16x16x32_i8 v[132:135], a[190:191], a[94:95], v[132:135]// 000000004194: D3D70084 1E12BDBE
	buffer_load_dword v71, s[20:23], 0 offen lds               // 00000000419C: E0511000 80050047
	s_add_u32 m0, 0x600, s48                                   // 0000000041A4: 807C30FF 00000600
	v_mfma_i32_16x16x32_i8 v[100:103], a[176:177], a[96:97], v[100:103]// 0000000041AC: D3D70064 1D92C1B0
	v_mfma_i32_16x16x32_i8 v[100:103], a[178:179], a[98:99], v[100:103]// 0000000041B4: D3D70064 1D92C5B2
	buffer_load_dword v72, s[20:23], 0 offen lds               // 0000000041BC: E0511000 80050048
	s_add_u32 m0, 0x700, s48                                   // 0000000041C4: 807C30FF 00000700
	v_mfma_i32_16x16x32_i8 v[100:103], a[180:181], a[100:101], v[100:103]// 0000000041CC: D3D70064 1D92C9B4
	v_mfma_i32_16x16x32_i8 v[100:103], a[182:183], a[102:103], v[100:103]// 0000000041D4: D3D70064 1D92CDB6
	buffer_load_dword v73, s[20:23], 0 offen lds               // 0000000041DC: E0511000 80050049
	s_add_u32 m0, 0x800, s48                                   // 0000000041E4: 807C30FF 00000800
	v_mfma_i32_16x16x32_i8 v[136:139], a[184:185], a[96:97], v[136:139]// 0000000041EC: D3D70088 1E22C1B8
	v_mfma_i32_16x16x32_i8 v[136:139], a[186:187], a[98:99], v[136:139]// 0000000041F4: D3D70088 1E22C5BA
	buffer_load_dword v74, s[20:23], 0 offen lds               // 0000000041FC: E0511000 8005004A
	s_add_u32 m0, 0x900, s48                                   // 000000004204: 807C30FF 00000900
	v_mfma_i32_16x16x32_i8 v[136:139], a[188:189], a[100:101], v[136:139]// 00000000420C: D3D70088 1E22C9BC
	v_mfma_i32_16x16x32_i8 v[136:139], a[190:191], a[102:103], v[136:139]// 000000004214: D3D70088 1E22CDBE
	buffer_load_dword v75, s[20:23], 0 offen lds               // 00000000421C: E0511000 8005004B
	s_add_u32 m0, 0xa00, s48                                   // 000000004224: 807C30FF 00000A00
	v_mfma_i32_16x16x32_i8 v[104:107], a[176:177], a[104:105], v[104:107]// 00000000422C: D3D70068 1DA2D1B0
	v_mfma_i32_16x16x32_i8 v[104:107], a[178:179], a[106:107], v[104:107]// 000000004234: D3D70068 1DA2D5B2
	buffer_load_dword v76, s[20:23], 0 offen lds               // 00000000423C: E0511000 8005004C
	s_add_u32 m0, 0xb00, s48                                   // 000000004244: 807C30FF 00000B00
	v_mfma_i32_16x16x32_i8 v[104:107], a[180:181], a[108:109], v[104:107]// 00000000424C: D3D70068 1DA2D9B4
	v_mfma_i32_16x16x32_i8 v[104:107], a[182:183], a[110:111], v[104:107]// 000000004254: D3D70068 1DA2DDB6
	buffer_load_dword v77, s[20:23], 0 offen lds               // 00000000425C: E0511000 8005004D
	s_add_u32 m0, 0xc00, s48                                   // 000000004264: 807C30FF 00000C00
	v_mfma_i32_16x16x32_i8 v[140:143], a[184:185], a[104:105], v[140:143]// 00000000426C: D3D7008C 1E32D1B8
	v_mfma_i32_16x16x32_i8 v[140:143], a[186:187], a[106:107], v[140:143]// 000000004274: D3D7008C 1E32D5BA
	buffer_load_dword v78, s[20:23], 0 offen lds               // 00000000427C: E0511000 8005004E
	s_add_u32 m0, 0xd00, s48                                   // 000000004284: 807C30FF 00000D00
	v_mfma_i32_16x16x32_i8 v[140:143], a[188:189], a[108:109], v[140:143]// 00000000428C: D3D7008C 1E32D9BC
	v_mfma_i32_16x16x32_i8 v[140:143], a[190:191], a[110:111], v[140:143]// 000000004294: D3D7008C 1E32DDBE
	buffer_load_dword v79, s[20:23], 0 offen lds               // 00000000429C: E0511000 8005004F
	s_add_u32 m0, 0xe00, s48                                   // 0000000042A4: 807C30FF 00000E00
	v_mfma_i32_16x16x32_i8 v[108:111], a[176:177], a[112:113], v[108:111]// 0000000042AC: D3D7006C 1DB2E1B0
	v_mfma_i32_16x16x32_i8 v[108:111], a[178:179], a[114:115], v[108:111]// 0000000042B4: D3D7006C 1DB2E5B2
	buffer_load_dword v80, s[20:23], 0 offen lds               // 0000000042BC: E0511000 80050050
	s_add_u32 m0, 0xf00, s48                                   // 0000000042C4: 807C30FF 00000F00
	v_mfma_i32_16x16x32_i8 v[108:111], a[180:181], a[116:117], v[108:111]// 0000000042CC: D3D7006C 1DB2E9B4
	v_mfma_i32_16x16x32_i8 v[108:111], a[182:183], a[118:119], v[108:111]// 0000000042D4: D3D7006C 1DB2EDB6
	buffer_load_dword v81, s[20:23], 0 offen lds               // 0000000042DC: E0511000 80050051
	s_add_u32 m0, 0x1000, s48                                  // 0000000042E4: 807C30FF 00001000
	v_mfma_i32_16x16x32_i8 v[144:147], a[184:185], a[112:113], v[144:147]// 0000000042EC: D3D70090 1E42E1B8
	v_mfma_i32_16x16x32_i8 v[144:147], a[186:187], a[114:115], v[144:147]// 0000000042F4: D3D70090 1E42E5BA
	buffer_load_dword v82, s[20:23], 0 offen lds               // 0000000042FC: E0511000 80050052
	s_add_u32 m0, 0x1100, s48                                  // 000000004304: 807C30FF 00001100
	v_mfma_i32_16x16x32_i8 v[144:147], a[188:189], a[116:117], v[144:147]// 00000000430C: D3D70090 1E42E9BC
	v_mfma_i32_16x16x32_i8 v[144:147], a[190:191], a[118:119], v[144:147]// 000000004314: D3D70090 1E42EDBE
	buffer_load_dword v83, s[20:23], 0 offen lds               // 00000000431C: E0511000 80050053
	s_add_u32 m0, 0, s49                                       // 000000004324: 807C3180
	v_mfma_i32_16x16x32_i8 v[112:115], a[176:177], a[120:121], v[112:115]// 000000004328: D3D70070 1DC2F1B0
	v_mfma_i32_16x16x32_i8 v[112:115], a[178:179], a[122:123], v[112:115]// 000000004330: D3D70070 1DC2F5B2
	v_mfma_i32_16x16x32_i8 v[112:115], a[180:181], a[124:125], v[112:115]// 000000004338: D3D70070 1DC2F9B4
	v_mfma_i32_16x16x32_i8 v[112:115], a[182:183], a[126:127], v[112:115]// 000000004340: D3D70070 1DC2FDB6
	v_mfma_i32_16x16x32_i8 v[148:151], a[184:185], a[120:121], v[148:151]// 000000004348: D3D70094 1E52F1B8
	v_mfma_i32_16x16x32_i8 v[148:151], a[186:187], a[122:123], v[148:151]// 000000004350: D3D70094 1E52F5BA
	v_mfma_i32_16x16x32_i8 v[148:151], a[188:189], a[124:125], v[148:151]// 000000004358: D3D70094 1E52F9BC
	v_mfma_i32_16x16x32_i8 v[148:151], a[190:191], a[126:127], v[148:151]// 000000004360: D3D70094 1E52FDBE
	v_mfma_i32_16x16x32_i8 v[116:119], a[176:177], a[128:129], v[116:119]// 000000004368: D3D70074 1DD301B0
	v_mfma_i32_16x16x32_i8 v[116:119], a[178:179], a[130:131], v[116:119]// 000000004370: D3D70074 1DD305B2
	v_mfma_i32_16x16x32_i8 v[116:119], a[180:181], a[132:133], v[116:119]// 000000004378: D3D70074 1DD309B4
	v_mfma_i32_16x16x32_i8 v[116:119], a[182:183], a[134:135], v[116:119]// 000000004380: D3D70074 1DD30DB6
	v_mfma_i32_16x16x32_i8 v[152:155], a[184:185], a[128:129], v[152:155]// 000000004388: D3D70098 1E6301B8
	v_mfma_i32_16x16x32_i8 v[152:155], a[186:187], a[130:131], v[152:155]// 000000004390: D3D70098 1E6305BA
	v_mfma_i32_16x16x32_i8 v[152:155], a[188:189], a[132:133], v[152:155]// 000000004398: D3D70098 1E6309BC
	v_mfma_i32_16x16x32_i8 v[152:155], a[190:191], a[134:135], v[152:155]// 0000000043A0: D3D70098 1E630DBE
	v_mfma_i32_16x16x32_i8 v[120:123], a[176:177], a[136:137], v[120:123]// 0000000043A8: D3D70078 1DE311B0
	v_mfma_i32_16x16x32_i8 v[120:123], a[178:179], a[138:139], v[120:123]// 0000000043B0: D3D70078 1DE315B2
	v_mfma_i32_16x16x32_i8 v[120:123], a[180:181], a[140:141], v[120:123]// 0000000043B8: D3D70078 1DE319B4
	v_mfma_i32_16x16x32_i8 v[120:123], a[182:183], a[142:143], v[120:123]// 0000000043C0: D3D70078 1DE31DB6
	v_mfma_i32_16x16x32_i8 v[156:159], a[184:185], a[136:137], v[156:159]// 0000000043C8: D3D7009C 1E7311B8
	v_mfma_i32_16x16x32_i8 v[156:159], a[186:187], a[138:139], v[156:159]// 0000000043D0: D3D7009C 1E7315BA
	v_mfma_i32_16x16x32_i8 v[156:159], a[188:189], a[140:141], v[156:159]// 0000000043D8: D3D7009C 1E7319BC
	v_mfma_i32_16x16x32_i8 v[156:159], a[190:191], a[142:143], v[156:159]// 0000000043E0: D3D7009C 1E731DBE
	s_waitcnt vmcnt(22)                                        // 0000000043E8: BF8C4F76
	s_barrier                                                  // 0000000043EC: BF8A0000
	v_mfma_i32_16x16x32_i8 v[160:163], a[144:145], a[72:73], v[160:163]// 0000000043F0: D3D700A0 1E829190
	v_mfma_i32_16x16x32_i8 v[160:163], a[146:147], a[74:75], v[160:163]// 0000000043F8: D3D700A0 1E829592
	buffer_load_dwordx4 a[176:179], v84, s[84:87], 0 offen     // 000000004400: E05C1000 8095B054
	v_mfma_i32_16x16x32_i8 v[160:163], a[148:149], a[76:77], v[160:163]// 000000004408: D3D700A0 1E829994
	v_mfma_i32_16x16x32_i8 v[160:163], a[150:151], a[78:79], v[160:163]// 000000004410: D3D700A0 1E829D96
	ds_read_b128 a[0:3], v2 offset:37120                       // 000000004418: DBFE9100 00000002
	ds_read_b128 a[4:7], v2 offset:37184                       // 000000004420: DBFE9140 04000002
	v_mfma_i32_16x16x32_i8 v[196:199], a[152:153], a[72:73], v[196:199]// 000000004428: D3D700C4 1F129198
	v_mfma_i32_16x16x32_i8 v[196:199], a[154:155], a[74:75], v[196:199]// 000000004430: D3D700C4 1F12959A
	buffer_load_dwordx4 a[180:183], v84, s[84:87], 0 offen offset:1024// 000000004438: E05C1400 8095B454
	v_mfma_i32_16x16x32_i8 v[196:199], a[156:157], a[76:77], v[196:199]// 000000004440: D3D700C4 1F12999C
	v_mfma_i32_16x16x32_i8 v[196:199], a[158:159], a[78:79], v[196:199]// 000000004448: D3D700C4 1F129D9E
	ds_read_b128 a[8:11], v2 offset:37632                      // 000000004450: DBFE9300 08000002
	ds_read_b128 a[12:15], v2 offset:37696                     // 000000004458: DBFE9340 0C000002
	v_mfma_i32_16x16x32_i8 v[164:167], a[144:145], a[80:81], v[164:167]// 000000004460: D3D700A4 1E92A190
	v_mfma_i32_16x16x32_i8 v[164:167], a[146:147], a[82:83], v[164:167]// 000000004468: D3D700A4 1E92A592
	buffer_load_dwordx4 a[184:187], v85, s[84:87], 0 offen     // 000000004470: E05C1000 8095B855
	v_mfma_i32_16x16x32_i8 v[164:167], a[148:149], a[84:85], v[164:167]// 000000004478: D3D700A4 1E92A994
	v_mfma_i32_16x16x32_i8 v[164:167], a[150:151], a[86:87], v[164:167]// 000000004480: D3D700A4 1E92AD96
	ds_read_b128 a[16:19], v2 offset:38144                     // 000000004488: DBFE9500 10000002
	ds_read_b128 a[20:23], v2 offset:38208                     // 000000004490: DBFE9540 14000002
	v_mfma_i32_16x16x32_i8 v[200:203], a[152:153], a[80:81], v[200:203]// 000000004498: D3D700C8 1F22A198
	v_mfma_i32_16x16x32_i8 v[200:203], a[154:155], a[82:83], v[200:203]// 0000000044A0: D3D700C8 1F22A59A
	buffer_load_dwordx4 a[188:191], v85, s[84:87], 0 offen offset:1024// 0000000044A8: E05C1400 8095BC55
	v_mfma_i32_16x16x32_i8 v[200:203], a[156:157], a[84:85], v[200:203]// 0000000044B0: D3D700C8 1F22A99C
	v_mfma_i32_16x16x32_i8 v[200:203], a[158:159], a[86:87], v[200:203]// 0000000044B8: D3D700C8 1F22AD9E
	ds_read_b128 a[24:27], v2 offset:38656                     // 0000000044C0: DBFE9700 18000002
	ds_read_b128 a[28:31], v2 offset:38720                     // 0000000044C8: DBFE9740 1C000002
	v_mfma_i32_16x16x32_i8 v[168:171], a[144:145], a[88:89], v[168:171]// 0000000044D0: D3D700A8 1EA2B190
	v_mfma_i32_16x16x32_i8 v[168:171], a[146:147], a[90:91], v[168:171]// 0000000044D8: D3D700A8 1EA2B592
	v_mfma_i32_16x16x32_i8 v[168:171], a[148:149], a[92:93], v[168:171]// 0000000044E0: D3D700A8 1EA2B994
	v_mfma_i32_16x16x32_i8 v[168:171], a[150:151], a[94:95], v[168:171]// 0000000044E8: D3D700A8 1EA2BD96
	ds_read_b128 a[32:35], v2 offset:39168                     // 0000000044F0: DBFE9900 20000002
	ds_read_b128 a[36:39], v2 offset:39232                     // 0000000044F8: DBFE9940 24000002
	v_mfma_i32_16x16x32_i8 v[204:207], a[152:153], a[88:89], v[204:207]// 000000004500: D3D700CC 1F32B198
	v_mfma_i32_16x16x32_i8 v[204:207], a[154:155], a[90:91], v[204:207]// 000000004508: D3D700CC 1F32B59A
	v_mfma_i32_16x16x32_i8 v[204:207], a[156:157], a[92:93], v[204:207]// 000000004510: D3D700CC 1F32B99C
	v_mfma_i32_16x16x32_i8 v[204:207], a[158:159], a[94:95], v[204:207]// 000000004518: D3D700CC 1F32BD9E
	ds_read_b128 a[40:43], v2 offset:39680                     // 000000004520: DBFE9B00 28000002
	ds_read_b128 a[44:47], v2 offset:39744                     // 000000004528: DBFE9B40 2C000002
	v_mfma_i32_16x16x32_i8 v[172:175], a[144:145], a[96:97], v[172:175]// 000000004530: D3D700AC 1EB2C190
	v_mfma_i32_16x16x32_i8 v[172:175], a[146:147], a[98:99], v[172:175]// 000000004538: D3D700AC 1EB2C592
	v_mfma_i32_16x16x32_i8 v[172:175], a[148:149], a[100:101], v[172:175]// 000000004540: D3D700AC 1EB2C994
	v_mfma_i32_16x16x32_i8 v[172:175], a[150:151], a[102:103], v[172:175]// 000000004548: D3D700AC 1EB2CD96
	ds_read_b128 a[48:51], v2 offset:40192                     // 000000004550: DBFE9D00 30000002
	ds_read_b128 a[52:55], v2 offset:40256                     // 000000004558: DBFE9D40 34000002
	v_mfma_i32_16x16x32_i8 v[208:211], a[152:153], a[96:97], v[208:211]// 000000004560: D3D700D0 1F42C198
	v_mfma_i32_16x16x32_i8 v[208:211], a[154:155], a[98:99], v[208:211]// 000000004568: D3D700D0 1F42C59A
	v_mfma_i32_16x16x32_i8 v[208:211], a[156:157], a[100:101], v[208:211]// 000000004570: D3D700D0 1F42C99C
	v_mfma_i32_16x16x32_i8 v[208:211], a[158:159], a[102:103], v[208:211]// 000000004578: D3D700D0 1F42CD9E
	ds_read_b128 a[56:59], v2 offset:40704                     // 000000004580: DBFE9F00 38000002
	ds_read_b128 a[60:63], v2 offset:40768                     // 000000004588: DBFE9F40 3C000002
	v_mfma_i32_16x16x32_i8 v[176:179], a[144:145], a[104:105], v[176:179]// 000000004590: D3D700B0 1EC2D190
	v_mfma_i32_16x16x32_i8 v[176:179], a[146:147], a[106:107], v[176:179]// 000000004598: D3D700B0 1EC2D592
	v_mfma_i32_16x16x32_i8 v[176:179], a[148:149], a[108:109], v[176:179]// 0000000045A0: D3D700B0 1EC2D994
	v_mfma_i32_16x16x32_i8 v[176:179], a[150:151], a[110:111], v[176:179]// 0000000045A8: D3D700B0 1EC2DD96
	ds_read_b128 a[64:67], v2 offset:41216                     // 0000000045B0: DBFEA100 40000002
	ds_read_b128 a[68:71], v2 offset:41280                     // 0000000045B8: DBFEA140 44000002
	v_mfma_i32_16x16x32_i8 v[212:215], a[152:153], a[104:105], v[212:215]// 0000000045C0: D3D700D4 1F52D198
	v_mfma_i32_16x16x32_i8 v[212:215], a[154:155], a[106:107], v[212:215]// 0000000045C8: D3D700D4 1F52D59A
	v_mfma_i32_16x16x32_i8 v[212:215], a[156:157], a[108:109], v[212:215]// 0000000045D0: D3D700D4 1F52D99C
	v_mfma_i32_16x16x32_i8 v[212:215], a[158:159], a[110:111], v[212:215]// 0000000045D8: D3D700D4 1F52DD9E
	v_mfma_i32_16x16x32_i8 v[180:183], a[144:145], a[112:113], v[180:183]// 0000000045E0: D3D700B4 1ED2E190
	v_mfma_i32_16x16x32_i8 v[180:183], a[146:147], a[114:115], v[180:183]// 0000000045E8: D3D700B4 1ED2E592
	v_mfma_i32_16x16x32_i8 v[180:183], a[148:149], a[116:117], v[180:183]// 0000000045F0: D3D700B4 1ED2E994
	v_mfma_i32_16x16x32_i8 v[180:183], a[150:151], a[118:119], v[180:183]// 0000000045F8: D3D700B4 1ED2ED96
	v_mfma_i32_16x16x32_i8 v[216:219], a[152:153], a[112:113], v[216:219]// 000000004600: D3D700D8 1F62E198
	v_mfma_i32_16x16x32_i8 v[216:219], a[154:155], a[114:115], v[216:219]// 000000004608: D3D700D8 1F62E59A
	v_mfma_i32_16x16x32_i8 v[216:219], a[156:157], a[116:117], v[216:219]// 000000004610: D3D700D8 1F62E99C
	v_mfma_i32_16x16x32_i8 v[216:219], a[158:159], a[118:119], v[216:219]// 000000004618: D3D700D8 1F62ED9E
	v_mfma_i32_16x16x32_i8 v[184:187], a[144:145], a[120:121], v[184:187]// 000000004620: D3D700B8 1EE2F190
	v_mfma_i32_16x16x32_i8 v[184:187], a[146:147], a[122:123], v[184:187]// 000000004628: D3D700B8 1EE2F592
	v_mfma_i32_16x16x32_i8 v[184:187], a[148:149], a[124:125], v[184:187]// 000000004630: D3D700B8 1EE2F994
	v_mfma_i32_16x16x32_i8 v[184:187], a[150:151], a[126:127], v[184:187]// 000000004638: D3D700B8 1EE2FD96
	v_mfma_i32_16x16x32_i8 v[220:223], a[152:153], a[120:121], v[220:223]// 000000004640: D3D700DC 1F72F198
	v_mfma_i32_16x16x32_i8 v[220:223], a[154:155], a[122:123], v[220:223]// 000000004648: D3D700DC 1F72F59A
	v_mfma_i32_16x16x32_i8 v[220:223], a[156:157], a[124:125], v[220:223]// 000000004650: D3D700DC 1F72F99C
	v_mfma_i32_16x16x32_i8 v[220:223], a[158:159], a[126:127], v[220:223]// 000000004658: D3D700DC 1F72FD9E
	v_mfma_i32_16x16x32_i8 v[188:191], a[144:145], a[128:129], v[188:191]// 000000004660: D3D700BC 1EF30190
	v_mfma_i32_16x16x32_i8 v[188:191], a[146:147], a[130:131], v[188:191]// 000000004668: D3D700BC 1EF30592
	v_mfma_i32_16x16x32_i8 v[188:191], a[148:149], a[132:133], v[188:191]// 000000004670: D3D700BC 1EF30994
	v_mfma_i32_16x16x32_i8 v[188:191], a[150:151], a[134:135], v[188:191]// 000000004678: D3D700BC 1EF30D96
	v_mfma_i32_16x16x32_i8 v[224:227], a[152:153], a[128:129], v[224:227]// 000000004680: D3D700E0 1F830198
	v_mfma_i32_16x16x32_i8 v[224:227], a[154:155], a[130:131], v[224:227]// 000000004688: D3D700E0 1F83059A
	v_mfma_i32_16x16x32_i8 v[224:227], a[156:157], a[132:133], v[224:227]// 000000004690: D3D700E0 1F83099C
	v_mfma_i32_16x16x32_i8 v[224:227], a[158:159], a[134:135], v[224:227]// 000000004698: D3D700E0 1F830D9E
	v_mfma_i32_16x16x32_i8 v[192:195], a[144:145], a[136:137], v[192:195]// 0000000046A0: D3D700C0 1F031190
	s_add_u32 s60, 0x180, s80                                  // 0000000046A8: 803C50FF 00000180
	s_cmp_lt_u32 s60, s81                                      // 0000000046B0: BF0A513C
	s_cselect_b32 s57, s57, 0                                  // 0000000046B4: 85398039
	v_mfma_i32_16x16x32_i8 v[192:195], a[146:147], a[138:139], v[192:195]// 0000000046B8: D3D700C0 1F031592
	s_add_u32 s60, 0x100, s80                                  // 0000000046C0: 803C50FF 00000100
	s_cmp_lt_u32 s60, s81                                      // 0000000046C8: BF0A513C
	s_cselect_b32 s58, s58, 0                                  // 0000000046CC: 853A803A
	v_mfma_i32_16x16x32_i8 v[192:195], a[148:149], a[140:141], v[192:195]// 0000000046D0: D3D700C0 1F031994
	s_add_u32 s60, 0x100, s80                                  // 0000000046D8: 803C50FF 00000100
	s_cmp_lt_u32 s60, s81                                      // 0000000046E0: BF0A513C
	s_cselect_b32 s83, s83, 0                                  // 0000000046E4: 85538053
	v_mfma_i32_16x16x32_i8 v[192:195], a[150:151], a[142:143], v[192:195]// 0000000046E8: D3D700C0 1F031D96
	s_add_u32 s24, s58, s24                                    // 0000000046F0: 8018183A
	s_addc_u32 s25, 0, s25                                     // 0000000046F4: 82191980
	v_mfma_i32_16x16x32_i8 v[228:231], a[152:153], a[136:137], v[228:231]// 0000000046F8: D3D700E4 1F931198
	s_add_u32 s20, s57, s20                                    // 000000004700: 80141439
	s_addc_u32 s21, 0, s21                                     // 000000004704: 82151580
	v_mfma_i32_16x16x32_i8 v[228:231], a[154:155], a[138:139], v[228:231]// 000000004708: D3D700E4 1F93159A
	s_add_u32 s84, s83, s84                                    // 000000004710: 80545453
	s_addc_u32 s85, 0, s85                                     // 000000004714: 82555580
	v_mfma_i32_16x16x32_i8 v[228:231], a[156:157], a[140:141], v[228:231]// 000000004718: D3D700E4 1F93199C
	v_mfma_i32_16x16x32_i8 v[228:231], a[158:159], a[142:143], v[228:231]// 000000004720: D3D700E4 1F931D9E
	s_addk_i32 s80, 0x80                                       // 000000004728: B7500080
	s_cmp_lt_i32 s80, s81                                      // 00000000472C: BF045150
	s_cbranch_scc0 label_0E1A                                  // 000000004730: BF8406CD
	s_waitcnt vmcnt(22) lgkmcnt(0)                             // 000000004734: BF8C4076
	v_mfma_i32_16x16x32_i8 v[88:91], a[160:161], a[0:1], v[88:91]// 000000004738: D3D70058 1D6201A0
	v_mfma_i32_16x16x32_i8 v[88:91], a[162:163], a[2:3], v[88:91]// 000000004740: D3D70058 1D6205A2
	buffer_load_dwordx4 a[144:147], v84, s[24:27], 0 offen     // 000000004748: E05C1000 80869054
	v_mfma_i32_16x16x32_i8 v[88:91], a[164:165], a[4:5], v[88:91]// 000000004750: D3D70058 1D6209A4
	v_mfma_i32_16x16x32_i8 v[88:91], a[166:167], a[6:7], v[88:91]// 000000004758: D3D70058 1D620DA6
	v_mfma_i32_16x16x32_i8 v[124:127], a[168:169], a[0:1], v[124:127]// 000000004760: D3D7007C 1DF201A8
	v_mfma_i32_16x16x32_i8 v[124:127], a[170:171], a[2:3], v[124:127]// 000000004768: D3D7007C 1DF205AA
	buffer_load_dwordx4 a[148:151], v84, s[24:27], 0 offen offset:1024// 000000004770: E05C1400 80869454
	v_mfma_i32_16x16x32_i8 v[124:127], a[172:173], a[4:5], v[124:127]// 000000004778: D3D7007C 1DF209AC
	v_mfma_i32_16x16x32_i8 v[124:127], a[174:175], a[6:7], v[124:127]// 000000004780: D3D7007C 1DF20DAE
	v_mfma_i32_16x16x32_i8 v[92:95], a[160:161], a[8:9], v[92:95]// 000000004788: D3D7005C 1D7211A0
	v_mfma_i32_16x16x32_i8 v[92:95], a[162:163], a[10:11], v[92:95]// 000000004790: D3D7005C 1D7215A2
	buffer_load_dwordx4 a[152:155], v85, s[24:27], 0 offen     // 000000004798: E05C1000 80869855
	v_mfma_i32_16x16x32_i8 v[92:95], a[164:165], a[12:13], v[92:95]// 0000000047A0: D3D7005C 1D7219A4
	v_mfma_i32_16x16x32_i8 v[92:95], a[166:167], a[14:15], v[92:95]// 0000000047A8: D3D7005C 1D721DA6
	v_mfma_i32_16x16x32_i8 v[128:131], a[168:169], a[8:9], v[128:131]// 0000000047B0: D3D70080 1E0211A8
	v_mfma_i32_16x16x32_i8 v[128:131], a[170:171], a[10:11], v[128:131]// 0000000047B8: D3D70080 1E0215AA
	buffer_load_dwordx4 a[156:159], v85, s[24:27], 0 offen offset:1024// 0000000047C0: E05C1400 80869C55
	buffer_load_dword v66, s[20:23], 0 offen lds               // 0000000047C8: E0511000 80050042
	s_add_u32 m0, 0x100, s49                                   // 0000000047D0: 807C31FF 00000100
	v_mfma_i32_16x16x32_i8 v[128:131], a[172:173], a[12:13], v[128:131]// 0000000047D8: D3D70080 1E0219AC
	v_mfma_i32_16x16x32_i8 v[128:131], a[174:175], a[14:15], v[128:131]// 0000000047E0: D3D70080 1E021DAE
	buffer_load_dword v67, s[20:23], 0 offen lds               // 0000000047E8: E0511000 80050043
	s_add_u32 m0, 0x200, s49                                   // 0000000047F0: 807C31FF 00000200
	v_mfma_i32_16x16x32_i8 v[96:99], a[160:161], a[16:17], v[96:99]// 0000000047F8: D3D70060 1D8221A0
	v_mfma_i32_16x16x32_i8 v[96:99], a[162:163], a[18:19], v[96:99]// 000000004800: D3D70060 1D8225A2
	buffer_load_dword v68, s[20:23], 0 offen lds               // 000000004808: E0511000 80050044
	s_add_u32 m0, 0x300, s49                                   // 000000004810: 807C31FF 00000300
	v_mfma_i32_16x16x32_i8 v[96:99], a[164:165], a[20:21], v[96:99]// 000000004818: D3D70060 1D8229A4
	v_mfma_i32_16x16x32_i8 v[96:99], a[166:167], a[22:23], v[96:99]// 000000004820: D3D70060 1D822DA6
	buffer_load_dword v69, s[20:23], 0 offen lds               // 000000004828: E0511000 80050045
	s_add_u32 m0, 0x400, s49                                   // 000000004830: 807C31FF 00000400
	v_mfma_i32_16x16x32_i8 v[132:135], a[168:169], a[16:17], v[132:135]// 000000004838: D3D70084 1E1221A8
	v_mfma_i32_16x16x32_i8 v[132:135], a[170:171], a[18:19], v[132:135]// 000000004840: D3D70084 1E1225AA
	buffer_load_dword v70, s[20:23], 0 offen lds               // 000000004848: E0511000 80050046
	s_add_u32 m0, 0x500, s49                                   // 000000004850: 807C31FF 00000500
	v_mfma_i32_16x16x32_i8 v[132:135], a[172:173], a[20:21], v[132:135]// 000000004858: D3D70084 1E1229AC
	v_mfma_i32_16x16x32_i8 v[132:135], a[174:175], a[22:23], v[132:135]// 000000004860: D3D70084 1E122DAE
	buffer_load_dword v71, s[20:23], 0 offen lds               // 000000004868: E0511000 80050047
	s_add_u32 m0, 0x600, s49                                   // 000000004870: 807C31FF 00000600
	v_mfma_i32_16x16x32_i8 v[100:103], a[160:161], a[24:25], v[100:103]// 000000004878: D3D70064 1D9231A0
	v_mfma_i32_16x16x32_i8 v[100:103], a[162:163], a[26:27], v[100:103]// 000000004880: D3D70064 1D9235A2
	buffer_load_dword v72, s[20:23], 0 offen lds               // 000000004888: E0511000 80050048
	s_add_u32 m0, 0x700, s49                                   // 000000004890: 807C31FF 00000700
	v_mfma_i32_16x16x32_i8 v[100:103], a[164:165], a[28:29], v[100:103]// 000000004898: D3D70064 1D9239A4
	v_mfma_i32_16x16x32_i8 v[100:103], a[166:167], a[30:31], v[100:103]// 0000000048A0: D3D70064 1D923DA6
	buffer_load_dword v73, s[20:23], 0 offen lds               // 0000000048A8: E0511000 80050049
	s_add_u32 m0, 0x800, s49                                   // 0000000048B0: 807C31FF 00000800
	v_mfma_i32_16x16x32_i8 v[136:139], a[168:169], a[24:25], v[136:139]// 0000000048B8: D3D70088 1E2231A8
	v_mfma_i32_16x16x32_i8 v[136:139], a[170:171], a[26:27], v[136:139]// 0000000048C0: D3D70088 1E2235AA
	buffer_load_dword v74, s[20:23], 0 offen lds               // 0000000048C8: E0511000 8005004A
	s_add_u32 m0, 0x900, s49                                   // 0000000048D0: 807C31FF 00000900
	v_mfma_i32_16x16x32_i8 v[136:139], a[172:173], a[28:29], v[136:139]// 0000000048D8: D3D70088 1E2239AC
	v_mfma_i32_16x16x32_i8 v[136:139], a[174:175], a[30:31], v[136:139]// 0000000048E0: D3D70088 1E223DAE
	buffer_load_dword v75, s[20:23], 0 offen lds               // 0000000048E8: E0511000 8005004B
	s_add_u32 m0, 0xa00, s49                                   // 0000000048F0: 807C31FF 00000A00
	v_mfma_i32_16x16x32_i8 v[104:107], a[160:161], a[32:33], v[104:107]// 0000000048F8: D3D70068 1DA241A0
	v_mfma_i32_16x16x32_i8 v[104:107], a[162:163], a[34:35], v[104:107]// 000000004900: D3D70068 1DA245A2
	buffer_load_dword v76, s[20:23], 0 offen lds               // 000000004908: E0511000 8005004C
	s_add_u32 m0, 0xb00, s49                                   // 000000004910: 807C31FF 00000B00
	v_mfma_i32_16x16x32_i8 v[104:107], a[164:165], a[36:37], v[104:107]// 000000004918: D3D70068 1DA249A4
	v_mfma_i32_16x16x32_i8 v[104:107], a[166:167], a[38:39], v[104:107]// 000000004920: D3D70068 1DA24DA6
	buffer_load_dword v77, s[20:23], 0 offen lds               // 000000004928: E0511000 8005004D
	s_add_u32 m0, 0xc00, s49                                   // 000000004930: 807C31FF 00000C00
	v_mfma_i32_16x16x32_i8 v[140:143], a[168:169], a[32:33], v[140:143]// 000000004938: D3D7008C 1E3241A8
	v_mfma_i32_16x16x32_i8 v[140:143], a[170:171], a[34:35], v[140:143]// 000000004940: D3D7008C 1E3245AA
	buffer_load_dword v78, s[20:23], 0 offen lds               // 000000004948: E0511000 8005004E
	s_add_u32 m0, 0xd00, s49                                   // 000000004950: 807C31FF 00000D00
	v_mfma_i32_16x16x32_i8 v[140:143], a[172:173], a[36:37], v[140:143]// 000000004958: D3D7008C 1E3249AC
	v_mfma_i32_16x16x32_i8 v[140:143], a[174:175], a[38:39], v[140:143]// 000000004960: D3D7008C 1E324DAE
	buffer_load_dword v79, s[20:23], 0 offen lds               // 000000004968: E0511000 8005004F
	s_add_u32 m0, 0xe00, s49                                   // 000000004970: 807C31FF 00000E00
	v_mfma_i32_16x16x32_i8 v[108:111], a[160:161], a[40:41], v[108:111]// 000000004978: D3D7006C 1DB251A0
	v_mfma_i32_16x16x32_i8 v[108:111], a[162:163], a[42:43], v[108:111]// 000000004980: D3D7006C 1DB255A2
	buffer_load_dword v80, s[20:23], 0 offen lds               // 000000004988: E0511000 80050050
	s_add_u32 m0, 0xf00, s49                                   // 000000004990: 807C31FF 00000F00
	v_mfma_i32_16x16x32_i8 v[108:111], a[164:165], a[44:45], v[108:111]// 000000004998: D3D7006C 1DB259A4
	v_mfma_i32_16x16x32_i8 v[108:111], a[166:167], a[46:47], v[108:111]// 0000000049A0: D3D7006C 1DB25DA6
	buffer_load_dword v81, s[20:23], 0 offen lds               // 0000000049A8: E0511000 80050051
	s_add_u32 m0, 0x1000, s49                                  // 0000000049B0: 807C31FF 00001000
	v_mfma_i32_16x16x32_i8 v[144:147], a[168:169], a[40:41], v[144:147]// 0000000049B8: D3D70090 1E4251A8
	v_mfma_i32_16x16x32_i8 v[144:147], a[170:171], a[42:43], v[144:147]// 0000000049C0: D3D70090 1E4255AA
	buffer_load_dword v82, s[20:23], 0 offen lds               // 0000000049C8: E0511000 80050052
	s_add_u32 m0, 0x1100, s49                                  // 0000000049D0: 807C31FF 00001100
	v_mfma_i32_16x16x32_i8 v[144:147], a[172:173], a[44:45], v[144:147]// 0000000049D8: D3D70090 1E4259AC
	v_mfma_i32_16x16x32_i8 v[144:147], a[174:175], a[46:47], v[144:147]// 0000000049E0: D3D70090 1E425DAE
	buffer_load_dword v83, s[20:23], 0 offen lds               // 0000000049E8: E0511000 80050053
	s_add_u32 m0, 0, s50                                       // 0000000049F0: 807C3280
	v_mfma_i32_16x16x32_i8 v[112:115], a[160:161], a[48:49], v[112:115]// 0000000049F4: D3D70070 1DC261A0
	v_mfma_i32_16x16x32_i8 v[112:115], a[162:163], a[50:51], v[112:115]// 0000000049FC: D3D70070 1DC265A2
	v_mfma_i32_16x16x32_i8 v[112:115], a[164:165], a[52:53], v[112:115]// 000000004A04: D3D70070 1DC269A4
	v_mfma_i32_16x16x32_i8 v[112:115], a[166:167], a[54:55], v[112:115]// 000000004A0C: D3D70070 1DC26DA6
	v_mfma_i32_16x16x32_i8 v[148:151], a[168:169], a[48:49], v[148:151]// 000000004A14: D3D70094 1E5261A8
	v_mfma_i32_16x16x32_i8 v[148:151], a[170:171], a[50:51], v[148:151]// 000000004A1C: D3D70094 1E5265AA
	v_mfma_i32_16x16x32_i8 v[148:151], a[172:173], a[52:53], v[148:151]// 000000004A24: D3D70094 1E5269AC
	v_mfma_i32_16x16x32_i8 v[148:151], a[174:175], a[54:55], v[148:151]// 000000004A2C: D3D70094 1E526DAE
	v_mfma_i32_16x16x32_i8 v[116:119], a[160:161], a[56:57], v[116:119]// 000000004A34: D3D70074 1DD271A0
	v_mfma_i32_16x16x32_i8 v[116:119], a[162:163], a[58:59], v[116:119]// 000000004A3C: D3D70074 1DD275A2
	v_mfma_i32_16x16x32_i8 v[116:119], a[164:165], a[60:61], v[116:119]// 000000004A44: D3D70074 1DD279A4
	v_mfma_i32_16x16x32_i8 v[116:119], a[166:167], a[62:63], v[116:119]// 000000004A4C: D3D70074 1DD27DA6
	v_mfma_i32_16x16x32_i8 v[152:155], a[168:169], a[56:57], v[152:155]// 000000004A54: D3D70098 1E6271A8
	v_mfma_i32_16x16x32_i8 v[152:155], a[170:171], a[58:59], v[152:155]// 000000004A5C: D3D70098 1E6275AA
	v_mfma_i32_16x16x32_i8 v[152:155], a[172:173], a[60:61], v[152:155]// 000000004A64: D3D70098 1E6279AC
	v_mfma_i32_16x16x32_i8 v[152:155], a[174:175], a[62:63], v[152:155]// 000000004A6C: D3D70098 1E627DAE
	v_mfma_i32_16x16x32_i8 v[120:123], a[160:161], a[64:65], v[120:123]// 000000004A74: D3D70078 1DE281A0
	v_mfma_i32_16x16x32_i8 v[120:123], a[162:163], a[66:67], v[120:123]// 000000004A7C: D3D70078 1DE285A2
	v_mfma_i32_16x16x32_i8 v[120:123], a[164:165], a[68:69], v[120:123]// 000000004A84: D3D70078 1DE289A4
	v_mfma_i32_16x16x32_i8 v[120:123], a[166:167], a[70:71], v[120:123]// 000000004A8C: D3D70078 1DE28DA6
	v_mfma_i32_16x16x32_i8 v[156:159], a[168:169], a[64:65], v[156:159]// 000000004A94: D3D7009C 1E7281A8
	v_mfma_i32_16x16x32_i8 v[156:159], a[170:171], a[66:67], v[156:159]// 000000004A9C: D3D7009C 1E7285AA
	v_mfma_i32_16x16x32_i8 v[156:159], a[172:173], a[68:69], v[156:159]// 000000004AA4: D3D7009C 1E7289AC
	v_mfma_i32_16x16x32_i8 v[156:159], a[174:175], a[70:71], v[156:159]// 000000004AAC: D3D7009C 1E728DAE
	s_waitcnt vmcnt(22)                                        // 000000004AB4: BF8C4F76
	s_barrier                                                  // 000000004AB8: BF8A0000
	v_mfma_i32_16x16x32_i8 v[160:163], a[176:177], a[0:1], v[160:163]// 000000004ABC: D3D700A0 1E8201B0
	v_mfma_i32_16x16x32_i8 v[160:163], a[178:179], a[2:3], v[160:163]// 000000004AC4: D3D700A0 1E8205B2
	buffer_load_dwordx4 a[160:163], v84, s[84:87], 0 offen     // 000000004ACC: E05C1000 8095A054
	v_mfma_i32_16x16x32_i8 v[160:163], a[180:181], a[4:5], v[160:163]// 000000004AD4: D3D700A0 1E8209B4
	v_mfma_i32_16x16x32_i8 v[160:163], a[182:183], a[6:7], v[160:163]// 000000004ADC: D3D700A0 1E820DB6
	ds_read_b128 a[72:75], v2                                  // 000000004AE4: DBFE0000 48000002
	ds_read_b128 a[76:79], v2 offset:64                        // 000000004AEC: DBFE0040 4C000002
	v_mfma_i32_16x16x32_i8 v[196:199], a[184:185], a[0:1], v[196:199]// 000000004AF4: D3D700C4 1F1201B8
	v_mfma_i32_16x16x32_i8 v[196:199], a[186:187], a[2:3], v[196:199]// 000000004AFC: D3D700C4 1F1205BA
	buffer_load_dwordx4 a[164:167], v84, s[84:87], 0 offen offset:1024// 000000004B04: E05C1400 8095A454
	v_mfma_i32_16x16x32_i8 v[196:199], a[188:189], a[4:5], v[196:199]// 000000004B0C: D3D700C4 1F1209BC
	v_mfma_i32_16x16x32_i8 v[196:199], a[190:191], a[6:7], v[196:199]// 000000004B14: D3D700C4 1F120DBE
	ds_read_b128 a[80:83], v2 offset:512                       // 000000004B1C: DBFE0200 50000002
	ds_read_b128 a[84:87], v2 offset:576                       // 000000004B24: DBFE0240 54000002
	v_mfma_i32_16x16x32_i8 v[164:167], a[176:177], a[8:9], v[164:167]// 000000004B2C: D3D700A4 1E9211B0
	v_mfma_i32_16x16x32_i8 v[164:167], a[178:179], a[10:11], v[164:167]// 000000004B34: D3D700A4 1E9215B2
	buffer_load_dwordx4 a[168:171], v85, s[84:87], 0 offen     // 000000004B3C: E05C1000 8095A855
	v_mfma_i32_16x16x32_i8 v[164:167], a[180:181], a[12:13], v[164:167]// 000000004B44: D3D700A4 1E9219B4
	v_mfma_i32_16x16x32_i8 v[164:167], a[182:183], a[14:15], v[164:167]// 000000004B4C: D3D700A4 1E921DB6
	ds_read_b128 a[88:91], v2 offset:1024                      // 000000004B54: DBFE0400 58000002
	ds_read_b128 a[92:95], v2 offset:1088                      // 000000004B5C: DBFE0440 5C000002
	v_mfma_i32_16x16x32_i8 v[200:203], a[184:185], a[8:9], v[200:203]// 000000004B64: D3D700C8 1F2211B8
	v_mfma_i32_16x16x32_i8 v[200:203], a[186:187], a[10:11], v[200:203]// 000000004B6C: D3D700C8 1F2215BA
	buffer_load_dwordx4 a[172:175], v85, s[84:87], 0 offen offset:1024// 000000004B74: E05C1400 8095AC55
	v_mfma_i32_16x16x32_i8 v[200:203], a[188:189], a[12:13], v[200:203]// 000000004B7C: D3D700C8 1F2219BC
	v_mfma_i32_16x16x32_i8 v[200:203], a[190:191], a[14:15], v[200:203]// 000000004B84: D3D700C8 1F221DBE
	ds_read_b128 a[96:99], v2 offset:1536                      // 000000004B8C: DBFE0600 60000002
	ds_read_b128 a[100:103], v2 offset:1600                    // 000000004B94: DBFE0640 64000002
	v_mfma_i32_16x16x32_i8 v[168:171], a[176:177], a[16:17], v[168:171]// 000000004B9C: D3D700A8 1EA221B0
	v_mfma_i32_16x16x32_i8 v[168:171], a[178:179], a[18:19], v[168:171]// 000000004BA4: D3D700A8 1EA225B2
	v_mfma_i32_16x16x32_i8 v[168:171], a[180:181], a[20:21], v[168:171]// 000000004BAC: D3D700A8 1EA229B4
	v_mfma_i32_16x16x32_i8 v[168:171], a[182:183], a[22:23], v[168:171]// 000000004BB4: D3D700A8 1EA22DB6
	ds_read_b128 a[104:107], v2 offset:2048                    // 000000004BBC: DBFE0800 68000002
	ds_read_b128 a[108:111], v2 offset:2112                    // 000000004BC4: DBFE0840 6C000002
	v_mfma_i32_16x16x32_i8 v[204:207], a[184:185], a[16:17], v[204:207]// 000000004BCC: D3D700CC 1F3221B8
	v_mfma_i32_16x16x32_i8 v[204:207], a[186:187], a[18:19], v[204:207]// 000000004BD4: D3D700CC 1F3225BA
	v_mfma_i32_16x16x32_i8 v[204:207], a[188:189], a[20:21], v[204:207]// 000000004BDC: D3D700CC 1F3229BC
	v_mfma_i32_16x16x32_i8 v[204:207], a[190:191], a[22:23], v[204:207]// 000000004BE4: D3D700CC 1F322DBE
	ds_read_b128 a[112:115], v2 offset:2560                    // 000000004BEC: DBFE0A00 70000002
	ds_read_b128 a[116:119], v2 offset:2624                    // 000000004BF4: DBFE0A40 74000002
	v_mfma_i32_16x16x32_i8 v[172:175], a[176:177], a[24:25], v[172:175]// 000000004BFC: D3D700AC 1EB231B0
	v_mfma_i32_16x16x32_i8 v[172:175], a[178:179], a[26:27], v[172:175]// 000000004C04: D3D700AC 1EB235B2
	v_mfma_i32_16x16x32_i8 v[172:175], a[180:181], a[28:29], v[172:175]// 000000004C0C: D3D700AC 1EB239B4
	v_mfma_i32_16x16x32_i8 v[172:175], a[182:183], a[30:31], v[172:175]// 000000004C14: D3D700AC 1EB23DB6
	ds_read_b128 a[120:123], v2 offset:3072                    // 000000004C1C: DBFE0C00 78000002
	ds_read_b128 a[124:127], v2 offset:3136                    // 000000004C24: DBFE0C40 7C000002
	v_mfma_i32_16x16x32_i8 v[208:211], a[184:185], a[24:25], v[208:211]// 000000004C2C: D3D700D0 1F4231B8
	v_mfma_i32_16x16x32_i8 v[208:211], a[186:187], a[26:27], v[208:211]// 000000004C34: D3D700D0 1F4235BA
	v_mfma_i32_16x16x32_i8 v[208:211], a[188:189], a[28:29], v[208:211]// 000000004C3C: D3D700D0 1F4239BC
	v_mfma_i32_16x16x32_i8 v[208:211], a[190:191], a[30:31], v[208:211]// 000000004C44: D3D700D0 1F423DBE
	ds_read_b128 a[128:131], v2 offset:3584                    // 000000004C4C: DBFE0E00 80000002
	ds_read_b128 a[132:135], v2 offset:3648                    // 000000004C54: DBFE0E40 84000002
	v_mfma_i32_16x16x32_i8 v[176:179], a[176:177], a[32:33], v[176:179]// 000000004C5C: D3D700B0 1EC241B0
	v_mfma_i32_16x16x32_i8 v[176:179], a[178:179], a[34:35], v[176:179]// 000000004C64: D3D700B0 1EC245B2
	v_mfma_i32_16x16x32_i8 v[176:179], a[180:181], a[36:37], v[176:179]// 000000004C6C: D3D700B0 1EC249B4
	v_mfma_i32_16x16x32_i8 v[176:179], a[182:183], a[38:39], v[176:179]// 000000004C74: D3D700B0 1EC24DB6
	ds_read_b128 a[136:139], v2 offset:4096                    // 000000004C7C: DBFE1000 88000002
	ds_read_b128 a[140:143], v2 offset:4160                    // 000000004C84: DBFE1040 8C000002
	v_mfma_i32_16x16x32_i8 v[212:215], a[184:185], a[32:33], v[212:215]// 000000004C8C: D3D700D4 1F5241B8
	v_mfma_i32_16x16x32_i8 v[212:215], a[186:187], a[34:35], v[212:215]// 000000004C94: D3D700D4 1F5245BA
	v_mfma_i32_16x16x32_i8 v[212:215], a[188:189], a[36:37], v[212:215]// 000000004C9C: D3D700D4 1F5249BC
	v_mfma_i32_16x16x32_i8 v[212:215], a[190:191], a[38:39], v[212:215]// 000000004CA4: D3D700D4 1F524DBE
	v_mfma_i32_16x16x32_i8 v[180:183], a[176:177], a[40:41], v[180:183]// 000000004CAC: D3D700B4 1ED251B0
	v_mfma_i32_16x16x32_i8 v[180:183], a[178:179], a[42:43], v[180:183]// 000000004CB4: D3D700B4 1ED255B2
	v_mfma_i32_16x16x32_i8 v[180:183], a[180:181], a[44:45], v[180:183]// 000000004CBC: D3D700B4 1ED259B4
	v_mfma_i32_16x16x32_i8 v[180:183], a[182:183], a[46:47], v[180:183]// 000000004CC4: D3D700B4 1ED25DB6
	v_mfma_i32_16x16x32_i8 v[216:219], a[184:185], a[40:41], v[216:219]// 000000004CCC: D3D700D8 1F6251B8
	v_mfma_i32_16x16x32_i8 v[216:219], a[186:187], a[42:43], v[216:219]// 000000004CD4: D3D700D8 1F6255BA
	v_mfma_i32_16x16x32_i8 v[216:219], a[188:189], a[44:45], v[216:219]// 000000004CDC: D3D700D8 1F6259BC
	v_mfma_i32_16x16x32_i8 v[216:219], a[190:191], a[46:47], v[216:219]// 000000004CE4: D3D700D8 1F625DBE
	v_mfma_i32_16x16x32_i8 v[184:187], a[176:177], a[48:49], v[184:187]// 000000004CEC: D3D700B8 1EE261B0
	v_mfma_i32_16x16x32_i8 v[184:187], a[178:179], a[50:51], v[184:187]// 000000004CF4: D3D700B8 1EE265B2
	v_mfma_i32_16x16x32_i8 v[184:187], a[180:181], a[52:53], v[184:187]// 000000004CFC: D3D700B8 1EE269B4
	v_mfma_i32_16x16x32_i8 v[184:187], a[182:183], a[54:55], v[184:187]// 000000004D04: D3D700B8 1EE26DB6
	v_mfma_i32_16x16x32_i8 v[220:223], a[184:185], a[48:49], v[220:223]// 000000004D0C: D3D700DC 1F7261B8
	v_mfma_i32_16x16x32_i8 v[220:223], a[186:187], a[50:51], v[220:223]// 000000004D14: D3D700DC 1F7265BA
	v_mfma_i32_16x16x32_i8 v[220:223], a[188:189], a[52:53], v[220:223]// 000000004D1C: D3D700DC 1F7269BC
	v_mfma_i32_16x16x32_i8 v[220:223], a[190:191], a[54:55], v[220:223]// 000000004D24: D3D700DC 1F726DBE
	v_mfma_i32_16x16x32_i8 v[188:191], a[176:177], a[56:57], v[188:191]// 000000004D2C: D3D700BC 1EF271B0
	v_mfma_i32_16x16x32_i8 v[188:191], a[178:179], a[58:59], v[188:191]// 000000004D34: D3D700BC 1EF275B2
	v_mfma_i32_16x16x32_i8 v[188:191], a[180:181], a[60:61], v[188:191]// 000000004D3C: D3D700BC 1EF279B4
	v_mfma_i32_16x16x32_i8 v[188:191], a[182:183], a[62:63], v[188:191]// 000000004D44: D3D700BC 1EF27DB6
	v_mfma_i32_16x16x32_i8 v[224:227], a[184:185], a[56:57], v[224:227]// 000000004D4C: D3D700E0 1F8271B8
	v_mfma_i32_16x16x32_i8 v[224:227], a[186:187], a[58:59], v[224:227]// 000000004D54: D3D700E0 1F8275BA
	v_mfma_i32_16x16x32_i8 v[224:227], a[188:189], a[60:61], v[224:227]// 000000004D5C: D3D700E0 1F8279BC
	v_mfma_i32_16x16x32_i8 v[224:227], a[190:191], a[62:63], v[224:227]// 000000004D64: D3D700E0 1F827DBE
	v_mfma_i32_16x16x32_i8 v[192:195], a[176:177], a[64:65], v[192:195]// 000000004D6C: D3D700C0 1F0281B0
	s_add_u32 s60, 0x180, s80                                  // 000000004D74: 803C50FF 00000180
	s_cmp_lt_u32 s60, s81                                      // 000000004D7C: BF0A513C
	s_cselect_b32 s57, s57, 0                                  // 000000004D80: 85398039
	v_mfma_i32_16x16x32_i8 v[192:195], a[178:179], a[66:67], v[192:195]// 000000004D84: D3D700C0 1F0285B2
	s_add_u32 s60, 0x100, s80                                  // 000000004D8C: 803C50FF 00000100
	s_cmp_lt_u32 s60, s81                                      // 000000004D94: BF0A513C
	s_cselect_b32 s58, s58, 0                                  // 000000004D98: 853A803A
	v_mfma_i32_16x16x32_i8 v[192:195], a[180:181], a[68:69], v[192:195]// 000000004D9C: D3D700C0 1F0289B4
	s_add_u32 s60, 0x100, s80                                  // 000000004DA4: 803C50FF 00000100
	s_cmp_lt_u32 s60, s81                                      // 000000004DAC: BF0A513C
	s_cselect_b32 s83, s83, 0                                  // 000000004DB0: 85538053
	v_mfma_i32_16x16x32_i8 v[192:195], a[182:183], a[70:71], v[192:195]// 000000004DB4: D3D700C0 1F028DB6
	s_add_u32 s24, s58, s24                                    // 000000004DBC: 8018183A
	s_addc_u32 s25, 0, s25                                     // 000000004DC0: 82191980
	v_mfma_i32_16x16x32_i8 v[228:231], a[184:185], a[64:65], v[228:231]// 000000004DC4: D3D700E4 1F9281B8
	s_add_u32 s20, s57, s20                                    // 000000004DCC: 80141439
	s_addc_u32 s21, 0, s21                                     // 000000004DD0: 82151580
	v_mfma_i32_16x16x32_i8 v[228:231], a[186:187], a[66:67], v[228:231]// 000000004DD4: D3D700E4 1F9285BA
	s_add_u32 s84, s83, s84                                    // 000000004DDC: 80545453
	s_addc_u32 s85, 0, s85                                     // 000000004DE0: 82555580
	v_mfma_i32_16x16x32_i8 v[228:231], a[188:189], a[68:69], v[228:231]// 000000004DE4: D3D700E4 1F9289BC
	v_mfma_i32_16x16x32_i8 v[228:231], a[190:191], a[70:71], v[228:231]// 000000004DEC: D3D700E4 1F928DBE
	s_addk_i32 s80, 0x80                                       // 000000004DF4: B7500080
	s_cmp_lt_i32 s80, s81                                      // 000000004DF8: BF045150
	s_cbranch_scc0 label_0E1A                                  // 000000004DFC: BF84051A
	s_waitcnt vmcnt(22) lgkmcnt(0)                             // 000000004E00: BF8C4076
	v_mfma_i32_16x16x32_i8 v[88:91], a[144:145], a[72:73], v[88:91]// 000000004E04: D3D70058 1D629190
	v_mfma_i32_16x16x32_i8 v[88:91], a[146:147], a[74:75], v[88:91]// 000000004E0C: D3D70058 1D629592
	buffer_load_dwordx4 a[176:179], v84, s[24:27], 0 offen     // 000000004E14: E05C1000 8086B054
	v_mfma_i32_16x16x32_i8 v[88:91], a[148:149], a[76:77], v[88:91]// 000000004E1C: D3D70058 1D629994
	v_mfma_i32_16x16x32_i8 v[88:91], a[150:151], a[78:79], v[88:91]// 000000004E24: D3D70058 1D629D96
	v_mfma_i32_16x16x32_i8 v[124:127], a[152:153], a[72:73], v[124:127]// 000000004E2C: D3D7007C 1DF29198
	v_mfma_i32_16x16x32_i8 v[124:127], a[154:155], a[74:75], v[124:127]// 000000004E34: D3D7007C 1DF2959A
	buffer_load_dwordx4 a[180:183], v84, s[24:27], 0 offen offset:1024// 000000004E3C: E05C1400 8086B454
	v_mfma_i32_16x16x32_i8 v[124:127], a[156:157], a[76:77], v[124:127]// 000000004E44: D3D7007C 1DF2999C
	v_mfma_i32_16x16x32_i8 v[124:127], a[158:159], a[78:79], v[124:127]// 000000004E4C: D3D7007C 1DF29D9E
	v_mfma_i32_16x16x32_i8 v[92:95], a[144:145], a[80:81], v[92:95]// 000000004E54: D3D7005C 1D72A190
	v_mfma_i32_16x16x32_i8 v[92:95], a[146:147], a[82:83], v[92:95]// 000000004E5C: D3D7005C 1D72A592
	buffer_load_dwordx4 a[184:187], v85, s[24:27], 0 offen     // 000000004E64: E05C1000 8086B855
	v_mfma_i32_16x16x32_i8 v[92:95], a[148:149], a[84:85], v[92:95]// 000000004E6C: D3D7005C 1D72A994
	v_mfma_i32_16x16x32_i8 v[92:95], a[150:151], a[86:87], v[92:95]// 000000004E74: D3D7005C 1D72AD96
	v_mfma_i32_16x16x32_i8 v[128:131], a[152:153], a[80:81], v[128:131]// 000000004E7C: D3D70080 1E02A198
	v_mfma_i32_16x16x32_i8 v[128:131], a[154:155], a[82:83], v[128:131]// 000000004E84: D3D70080 1E02A59A
	buffer_load_dwordx4 a[188:191], v85, s[24:27], 0 offen offset:1024// 000000004E8C: E05C1400 8086BC55
	buffer_load_dword v66, s[20:23], 0 offen lds               // 000000004E94: E0511000 80050042
	s_add_u32 m0, 0x100, s50                                   // 000000004E9C: 807C32FF 00000100
	v_mfma_i32_16x16x32_i8 v[128:131], a[156:157], a[84:85], v[128:131]// 000000004EA4: D3D70080 1E02A99C
	v_mfma_i32_16x16x32_i8 v[128:131], a[158:159], a[86:87], v[128:131]// 000000004EAC: D3D70080 1E02AD9E
	buffer_load_dword v67, s[20:23], 0 offen lds               // 000000004EB4: E0511000 80050043
	s_add_u32 m0, 0x200, s50                                   // 000000004EBC: 807C32FF 00000200
	v_mfma_i32_16x16x32_i8 v[96:99], a[144:145], a[88:89], v[96:99]// 000000004EC4: D3D70060 1D82B190
	v_mfma_i32_16x16x32_i8 v[96:99], a[146:147], a[90:91], v[96:99]// 000000004ECC: D3D70060 1D82B592
	buffer_load_dword v68, s[20:23], 0 offen lds               // 000000004ED4: E0511000 80050044
	s_add_u32 m0, 0x300, s50                                   // 000000004EDC: 807C32FF 00000300
	v_mfma_i32_16x16x32_i8 v[96:99], a[148:149], a[92:93], v[96:99]// 000000004EE4: D3D70060 1D82B994
	v_mfma_i32_16x16x32_i8 v[96:99], a[150:151], a[94:95], v[96:99]// 000000004EEC: D3D70060 1D82BD96
	buffer_load_dword v69, s[20:23], 0 offen lds               // 000000004EF4: E0511000 80050045
	s_add_u32 m0, 0x400, s50                                   // 000000004EFC: 807C32FF 00000400
	v_mfma_i32_16x16x32_i8 v[132:135], a[152:153], a[88:89], v[132:135]// 000000004F04: D3D70084 1E12B198
	v_mfma_i32_16x16x32_i8 v[132:135], a[154:155], a[90:91], v[132:135]// 000000004F0C: D3D70084 1E12B59A
	buffer_load_dword v70, s[20:23], 0 offen lds               // 000000004F14: E0511000 80050046
	s_add_u32 m0, 0x500, s50                                   // 000000004F1C: 807C32FF 00000500
	v_mfma_i32_16x16x32_i8 v[132:135], a[156:157], a[92:93], v[132:135]// 000000004F24: D3D70084 1E12B99C
	v_mfma_i32_16x16x32_i8 v[132:135], a[158:159], a[94:95], v[132:135]// 000000004F2C: D3D70084 1E12BD9E
	buffer_load_dword v71, s[20:23], 0 offen lds               // 000000004F34: E0511000 80050047
	s_add_u32 m0, 0x600, s50                                   // 000000004F3C: 807C32FF 00000600
	v_mfma_i32_16x16x32_i8 v[100:103], a[144:145], a[96:97], v[100:103]// 000000004F44: D3D70064 1D92C190
	v_mfma_i32_16x16x32_i8 v[100:103], a[146:147], a[98:99], v[100:103]// 000000004F4C: D3D70064 1D92C592
	buffer_load_dword v72, s[20:23], 0 offen lds               // 000000004F54: E0511000 80050048
	s_add_u32 m0, 0x700, s50                                   // 000000004F5C: 807C32FF 00000700
	v_mfma_i32_16x16x32_i8 v[100:103], a[148:149], a[100:101], v[100:103]// 000000004F64: D3D70064 1D92C994
	v_mfma_i32_16x16x32_i8 v[100:103], a[150:151], a[102:103], v[100:103]// 000000004F6C: D3D70064 1D92CD96
	buffer_load_dword v73, s[20:23], 0 offen lds               // 000000004F74: E0511000 80050049
	s_add_u32 m0, 0x800, s50                                   // 000000004F7C: 807C32FF 00000800
	v_mfma_i32_16x16x32_i8 v[136:139], a[152:153], a[96:97], v[136:139]// 000000004F84: D3D70088 1E22C198
	v_mfma_i32_16x16x32_i8 v[136:139], a[154:155], a[98:99], v[136:139]// 000000004F8C: D3D70088 1E22C59A
	buffer_load_dword v74, s[20:23], 0 offen lds               // 000000004F94: E0511000 8005004A
	s_add_u32 m0, 0x900, s50                                   // 000000004F9C: 807C32FF 00000900
	v_mfma_i32_16x16x32_i8 v[136:139], a[156:157], a[100:101], v[136:139]// 000000004FA4: D3D70088 1E22C99C
	v_mfma_i32_16x16x32_i8 v[136:139], a[158:159], a[102:103], v[136:139]// 000000004FAC: D3D70088 1E22CD9E
	buffer_load_dword v75, s[20:23], 0 offen lds               // 000000004FB4: E0511000 8005004B
	s_add_u32 m0, 0xa00, s50                                   // 000000004FBC: 807C32FF 00000A00
	v_mfma_i32_16x16x32_i8 v[104:107], a[144:145], a[104:105], v[104:107]// 000000004FC4: D3D70068 1DA2D190
	v_mfma_i32_16x16x32_i8 v[104:107], a[146:147], a[106:107], v[104:107]// 000000004FCC: D3D70068 1DA2D592
	buffer_load_dword v76, s[20:23], 0 offen lds               // 000000004FD4: E0511000 8005004C
	s_add_u32 m0, 0xb00, s50                                   // 000000004FDC: 807C32FF 00000B00
	v_mfma_i32_16x16x32_i8 v[104:107], a[148:149], a[108:109], v[104:107]// 000000004FE4: D3D70068 1DA2D994
	v_mfma_i32_16x16x32_i8 v[104:107], a[150:151], a[110:111], v[104:107]// 000000004FEC: D3D70068 1DA2DD96
	buffer_load_dword v77, s[20:23], 0 offen lds               // 000000004FF4: E0511000 8005004D
	s_add_u32 m0, 0xc00, s50                                   // 000000004FFC: 807C32FF 00000C00
	v_mfma_i32_16x16x32_i8 v[140:143], a[152:153], a[104:105], v[140:143]// 000000005004: D3D7008C 1E32D198
	v_mfma_i32_16x16x32_i8 v[140:143], a[154:155], a[106:107], v[140:143]// 00000000500C: D3D7008C 1E32D59A
	buffer_load_dword v78, s[20:23], 0 offen lds               // 000000005014: E0511000 8005004E
	s_add_u32 m0, 0xd00, s50                                   // 00000000501C: 807C32FF 00000D00
	v_mfma_i32_16x16x32_i8 v[140:143], a[156:157], a[108:109], v[140:143]// 000000005024: D3D7008C 1E32D99C
	v_mfma_i32_16x16x32_i8 v[140:143], a[158:159], a[110:111], v[140:143]// 00000000502C: D3D7008C 1E32DD9E
	buffer_load_dword v79, s[20:23], 0 offen lds               // 000000005034: E0511000 8005004F
	s_add_u32 m0, 0xe00, s50                                   // 00000000503C: 807C32FF 00000E00
	v_mfma_i32_16x16x32_i8 v[108:111], a[144:145], a[112:113], v[108:111]// 000000005044: D3D7006C 1DB2E190
	v_mfma_i32_16x16x32_i8 v[108:111], a[146:147], a[114:115], v[108:111]// 00000000504C: D3D7006C 1DB2E592
	buffer_load_dword v80, s[20:23], 0 offen lds               // 000000005054: E0511000 80050050
	s_add_u32 m0, 0xf00, s50                                   // 00000000505C: 807C32FF 00000F00
	v_mfma_i32_16x16x32_i8 v[108:111], a[148:149], a[116:117], v[108:111]// 000000005064: D3D7006C 1DB2E994
	v_mfma_i32_16x16x32_i8 v[108:111], a[150:151], a[118:119], v[108:111]// 00000000506C: D3D7006C 1DB2ED96
	buffer_load_dword v81, s[20:23], 0 offen lds               // 000000005074: E0511000 80050051
	s_add_u32 m0, 0x1000, s50                                  // 00000000507C: 807C32FF 00001000
	v_mfma_i32_16x16x32_i8 v[144:147], a[152:153], a[112:113], v[144:147]// 000000005084: D3D70090 1E42E198
	v_mfma_i32_16x16x32_i8 v[144:147], a[154:155], a[114:115], v[144:147]// 00000000508C: D3D70090 1E42E59A
	buffer_load_dword v82, s[20:23], 0 offen lds               // 000000005094: E0511000 80050052
	s_add_u32 m0, 0x1100, s50                                  // 00000000509C: 807C32FF 00001100
	v_mfma_i32_16x16x32_i8 v[144:147], a[156:157], a[116:117], v[144:147]// 0000000050A4: D3D70090 1E42E99C
	v_mfma_i32_16x16x32_i8 v[144:147], a[158:159], a[118:119], v[144:147]// 0000000050AC: D3D70090 1E42ED9E
	buffer_load_dword v83, s[20:23], 0 offen lds               // 0000000050B4: E0511000 80050053
	s_add_u32 m0, 0, s48                                       // 0000000050BC: 807C3080
	v_mfma_i32_16x16x32_i8 v[112:115], a[144:145], a[120:121], v[112:115]// 0000000050C0: D3D70070 1DC2F190
	v_mfma_i32_16x16x32_i8 v[112:115], a[146:147], a[122:123], v[112:115]// 0000000050C8: D3D70070 1DC2F592
	v_mfma_i32_16x16x32_i8 v[112:115], a[148:149], a[124:125], v[112:115]// 0000000050D0: D3D70070 1DC2F994
	v_mfma_i32_16x16x32_i8 v[112:115], a[150:151], a[126:127], v[112:115]// 0000000050D8: D3D70070 1DC2FD96
	v_mfma_i32_16x16x32_i8 v[148:151], a[152:153], a[120:121], v[148:151]// 0000000050E0: D3D70094 1E52F198
	v_mfma_i32_16x16x32_i8 v[148:151], a[154:155], a[122:123], v[148:151]// 0000000050E8: D3D70094 1E52F59A
	v_mfma_i32_16x16x32_i8 v[148:151], a[156:157], a[124:125], v[148:151]// 0000000050F0: D3D70094 1E52F99C
	v_mfma_i32_16x16x32_i8 v[148:151], a[158:159], a[126:127], v[148:151]// 0000000050F8: D3D70094 1E52FD9E
	v_mfma_i32_16x16x32_i8 v[116:119], a[144:145], a[128:129], v[116:119]// 000000005100: D3D70074 1DD30190
	v_mfma_i32_16x16x32_i8 v[116:119], a[146:147], a[130:131], v[116:119]// 000000005108: D3D70074 1DD30592
	v_mfma_i32_16x16x32_i8 v[116:119], a[148:149], a[132:133], v[116:119]// 000000005110: D3D70074 1DD30994
	v_mfma_i32_16x16x32_i8 v[116:119], a[150:151], a[134:135], v[116:119]// 000000005118: D3D70074 1DD30D96
	v_mfma_i32_16x16x32_i8 v[152:155], a[152:153], a[128:129], v[152:155]// 000000005120: D3D70098 1E630198
	v_mfma_i32_16x16x32_i8 v[152:155], a[154:155], a[130:131], v[152:155]// 000000005128: D3D70098 1E63059A
	v_mfma_i32_16x16x32_i8 v[152:155], a[156:157], a[132:133], v[152:155]// 000000005130: D3D70098 1E63099C
	v_mfma_i32_16x16x32_i8 v[152:155], a[158:159], a[134:135], v[152:155]// 000000005138: D3D70098 1E630D9E
	v_mfma_i32_16x16x32_i8 v[120:123], a[144:145], a[136:137], v[120:123]// 000000005140: D3D70078 1DE31190
	v_mfma_i32_16x16x32_i8 v[120:123], a[146:147], a[138:139], v[120:123]// 000000005148: D3D70078 1DE31592
	v_mfma_i32_16x16x32_i8 v[120:123], a[148:149], a[140:141], v[120:123]// 000000005150: D3D70078 1DE31994
	v_mfma_i32_16x16x32_i8 v[120:123], a[150:151], a[142:143], v[120:123]// 000000005158: D3D70078 1DE31D96
	v_mfma_i32_16x16x32_i8 v[156:159], a[152:153], a[136:137], v[156:159]// 000000005160: D3D7009C 1E731198
	v_mfma_i32_16x16x32_i8 v[156:159], a[154:155], a[138:139], v[156:159]// 000000005168: D3D7009C 1E73159A
	v_mfma_i32_16x16x32_i8 v[156:159], a[156:157], a[140:141], v[156:159]// 000000005170: D3D7009C 1E73199C
	v_mfma_i32_16x16x32_i8 v[156:159], a[158:159], a[142:143], v[156:159]// 000000005178: D3D7009C 1E731D9E
	s_waitcnt vmcnt(22)                                        // 000000005180: BF8C4F76
	s_barrier                                                  // 000000005184: BF8A0000
	v_mfma_i32_16x16x32_i8 v[160:163], a[160:161], a[72:73], v[160:163]// 000000005188: D3D700A0 1E8291A0
	v_mfma_i32_16x16x32_i8 v[160:163], a[162:163], a[74:75], v[160:163]// 000000005190: D3D700A0 1E8295A2
	buffer_load_dwordx4 a[144:147], v84, s[84:87], 0 offen     // 000000005198: E05C1000 80959054
	v_mfma_i32_16x16x32_i8 v[160:163], a[164:165], a[76:77], v[160:163]// 0000000051A0: D3D700A0 1E8299A4
	v_mfma_i32_16x16x32_i8 v[160:163], a[166:167], a[78:79], v[160:163]// 0000000051A8: D3D700A0 1E829DA6
	ds_read_b128 a[0:3], v2 offset:18560                       // 0000000051B0: DBFE4880 00000002
	ds_read_b128 a[4:7], v2 offset:18624                       // 0000000051B8: DBFE48C0 04000002
	v_mfma_i32_16x16x32_i8 v[196:199], a[168:169], a[72:73], v[196:199]// 0000000051C0: D3D700C4 1F1291A8
	v_mfma_i32_16x16x32_i8 v[196:199], a[170:171], a[74:75], v[196:199]// 0000000051C8: D3D700C4 1F1295AA
	buffer_load_dwordx4 a[148:151], v84, s[84:87], 0 offen offset:1024// 0000000051D0: E05C1400 80959454
	v_mfma_i32_16x16x32_i8 v[196:199], a[172:173], a[76:77], v[196:199]// 0000000051D8: D3D700C4 1F1299AC
	v_mfma_i32_16x16x32_i8 v[196:199], a[174:175], a[78:79], v[196:199]// 0000000051E0: D3D700C4 1F129DAE
	ds_read_b128 a[8:11], v2 offset:19072                      // 0000000051E8: DBFE4A80 08000002
	ds_read_b128 a[12:15], v2 offset:19136                     // 0000000051F0: DBFE4AC0 0C000002
	v_mfma_i32_16x16x32_i8 v[164:167], a[160:161], a[80:81], v[164:167]// 0000000051F8: D3D700A4 1E92A1A0
	v_mfma_i32_16x16x32_i8 v[164:167], a[162:163], a[82:83], v[164:167]// 000000005200: D3D700A4 1E92A5A2
	buffer_load_dwordx4 a[152:155], v85, s[84:87], 0 offen     // 000000005208: E05C1000 80959855
	v_mfma_i32_16x16x32_i8 v[164:167], a[164:165], a[84:85], v[164:167]// 000000005210: D3D700A4 1E92A9A4
	v_mfma_i32_16x16x32_i8 v[164:167], a[166:167], a[86:87], v[164:167]// 000000005218: D3D700A4 1E92ADA6
	ds_read_b128 a[16:19], v2 offset:19584                     // 000000005220: DBFE4C80 10000002
	ds_read_b128 a[20:23], v2 offset:19648                     // 000000005228: DBFE4CC0 14000002
	v_mfma_i32_16x16x32_i8 v[200:203], a[168:169], a[80:81], v[200:203]// 000000005230: D3D700C8 1F22A1A8
	v_mfma_i32_16x16x32_i8 v[200:203], a[170:171], a[82:83], v[200:203]// 000000005238: D3D700C8 1F22A5AA
	buffer_load_dwordx4 a[156:159], v85, s[84:87], 0 offen offset:1024// 000000005240: E05C1400 80959C55
	v_mfma_i32_16x16x32_i8 v[200:203], a[172:173], a[84:85], v[200:203]// 000000005248: D3D700C8 1F22A9AC
	v_mfma_i32_16x16x32_i8 v[200:203], a[174:175], a[86:87], v[200:203]// 000000005250: D3D700C8 1F22ADAE
	ds_read_b128 a[24:27], v2 offset:20096                     // 000000005258: DBFE4E80 18000002
	ds_read_b128 a[28:31], v2 offset:20160                     // 000000005260: DBFE4EC0 1C000002
	v_mfma_i32_16x16x32_i8 v[168:171], a[160:161], a[88:89], v[168:171]// 000000005268: D3D700A8 1EA2B1A0
	v_mfma_i32_16x16x32_i8 v[168:171], a[162:163], a[90:91], v[168:171]// 000000005270: D3D700A8 1EA2B5A2
	v_mfma_i32_16x16x32_i8 v[168:171], a[164:165], a[92:93], v[168:171]// 000000005278: D3D700A8 1EA2B9A4
	v_mfma_i32_16x16x32_i8 v[168:171], a[166:167], a[94:95], v[168:171]// 000000005280: D3D700A8 1EA2BDA6
	ds_read_b128 a[32:35], v2 offset:20608                     // 000000005288: DBFE5080 20000002
	ds_read_b128 a[36:39], v2 offset:20672                     // 000000005290: DBFE50C0 24000002
	v_mfma_i32_16x16x32_i8 v[204:207], a[168:169], a[88:89], v[204:207]// 000000005298: D3D700CC 1F32B1A8
	v_mfma_i32_16x16x32_i8 v[204:207], a[170:171], a[90:91], v[204:207]// 0000000052A0: D3D700CC 1F32B5AA
	v_mfma_i32_16x16x32_i8 v[204:207], a[172:173], a[92:93], v[204:207]// 0000000052A8: D3D700CC 1F32B9AC
	v_mfma_i32_16x16x32_i8 v[204:207], a[174:175], a[94:95], v[204:207]// 0000000052B0: D3D700CC 1F32BDAE
	ds_read_b128 a[40:43], v2 offset:21120                     // 0000000052B8: DBFE5280 28000002
	ds_read_b128 a[44:47], v2 offset:21184                     // 0000000052C0: DBFE52C0 2C000002
	v_mfma_i32_16x16x32_i8 v[172:175], a[160:161], a[96:97], v[172:175]// 0000000052C8: D3D700AC 1EB2C1A0
	v_mfma_i32_16x16x32_i8 v[172:175], a[162:163], a[98:99], v[172:175]// 0000000052D0: D3D700AC 1EB2C5A2
	v_mfma_i32_16x16x32_i8 v[172:175], a[164:165], a[100:101], v[172:175]// 0000000052D8: D3D700AC 1EB2C9A4
	v_mfma_i32_16x16x32_i8 v[172:175], a[166:167], a[102:103], v[172:175]// 0000000052E0: D3D700AC 1EB2CDA6
	ds_read_b128 a[48:51], v2 offset:21632                     // 0000000052E8: DBFE5480 30000002
	ds_read_b128 a[52:55], v2 offset:21696                     // 0000000052F0: DBFE54C0 34000002
	v_mfma_i32_16x16x32_i8 v[208:211], a[168:169], a[96:97], v[208:211]// 0000000052F8: D3D700D0 1F42C1A8
	v_mfma_i32_16x16x32_i8 v[208:211], a[170:171], a[98:99], v[208:211]// 000000005300: D3D700D0 1F42C5AA
	v_mfma_i32_16x16x32_i8 v[208:211], a[172:173], a[100:101], v[208:211]// 000000005308: D3D700D0 1F42C9AC
	v_mfma_i32_16x16x32_i8 v[208:211], a[174:175], a[102:103], v[208:211]// 000000005310: D3D700D0 1F42CDAE
	ds_read_b128 a[56:59], v2 offset:22144                     // 000000005318: DBFE5680 38000002
	ds_read_b128 a[60:63], v2 offset:22208                     // 000000005320: DBFE56C0 3C000002
	v_mfma_i32_16x16x32_i8 v[176:179], a[160:161], a[104:105], v[176:179]// 000000005328: D3D700B0 1EC2D1A0
	v_mfma_i32_16x16x32_i8 v[176:179], a[162:163], a[106:107], v[176:179]// 000000005330: D3D700B0 1EC2D5A2
	v_mfma_i32_16x16x32_i8 v[176:179], a[164:165], a[108:109], v[176:179]// 000000005338: D3D700B0 1EC2D9A4
	v_mfma_i32_16x16x32_i8 v[176:179], a[166:167], a[110:111], v[176:179]// 000000005340: D3D700B0 1EC2DDA6
	ds_read_b128 a[64:67], v2 offset:22656                     // 000000005348: DBFE5880 40000002
	ds_read_b128 a[68:71], v2 offset:22720                     // 000000005350: DBFE58C0 44000002
	v_mfma_i32_16x16x32_i8 v[212:215], a[168:169], a[104:105], v[212:215]// 000000005358: D3D700D4 1F52D1A8
	v_mfma_i32_16x16x32_i8 v[212:215], a[170:171], a[106:107], v[212:215]// 000000005360: D3D700D4 1F52D5AA
	v_mfma_i32_16x16x32_i8 v[212:215], a[172:173], a[108:109], v[212:215]// 000000005368: D3D700D4 1F52D9AC
	v_mfma_i32_16x16x32_i8 v[212:215], a[174:175], a[110:111], v[212:215]// 000000005370: D3D700D4 1F52DDAE
	v_mfma_i32_16x16x32_i8 v[180:183], a[160:161], a[112:113], v[180:183]// 000000005378: D3D700B4 1ED2E1A0
	v_mfma_i32_16x16x32_i8 v[180:183], a[162:163], a[114:115], v[180:183]// 000000005380: D3D700B4 1ED2E5A2
	v_mfma_i32_16x16x32_i8 v[180:183], a[164:165], a[116:117], v[180:183]// 000000005388: D3D700B4 1ED2E9A4
	v_mfma_i32_16x16x32_i8 v[180:183], a[166:167], a[118:119], v[180:183]// 000000005390: D3D700B4 1ED2EDA6
	v_mfma_i32_16x16x32_i8 v[216:219], a[168:169], a[112:113], v[216:219]// 000000005398: D3D700D8 1F62E1A8
	v_mfma_i32_16x16x32_i8 v[216:219], a[170:171], a[114:115], v[216:219]// 0000000053A0: D3D700D8 1F62E5AA
	v_mfma_i32_16x16x32_i8 v[216:219], a[172:173], a[116:117], v[216:219]// 0000000053A8: D3D700D8 1F62E9AC
	v_mfma_i32_16x16x32_i8 v[216:219], a[174:175], a[118:119], v[216:219]// 0000000053B0: D3D700D8 1F62EDAE
	v_mfma_i32_16x16x32_i8 v[184:187], a[160:161], a[120:121], v[184:187]// 0000000053B8: D3D700B8 1EE2F1A0
	v_mfma_i32_16x16x32_i8 v[184:187], a[162:163], a[122:123], v[184:187]// 0000000053C0: D3D700B8 1EE2F5A2
	v_mfma_i32_16x16x32_i8 v[184:187], a[164:165], a[124:125], v[184:187]// 0000000053C8: D3D700B8 1EE2F9A4
	v_mfma_i32_16x16x32_i8 v[184:187], a[166:167], a[126:127], v[184:187]// 0000000053D0: D3D700B8 1EE2FDA6
	v_mfma_i32_16x16x32_i8 v[220:223], a[168:169], a[120:121], v[220:223]// 0000000053D8: D3D700DC 1F72F1A8
	v_mfma_i32_16x16x32_i8 v[220:223], a[170:171], a[122:123], v[220:223]// 0000000053E0: D3D700DC 1F72F5AA
	v_mfma_i32_16x16x32_i8 v[220:223], a[172:173], a[124:125], v[220:223]// 0000000053E8: D3D700DC 1F72F9AC
	v_mfma_i32_16x16x32_i8 v[220:223], a[174:175], a[126:127], v[220:223]// 0000000053F0: D3D700DC 1F72FDAE
	v_mfma_i32_16x16x32_i8 v[188:191], a[160:161], a[128:129], v[188:191]// 0000000053F8: D3D700BC 1EF301A0
	v_mfma_i32_16x16x32_i8 v[188:191], a[162:163], a[130:131], v[188:191]// 000000005400: D3D700BC 1EF305A2
	v_mfma_i32_16x16x32_i8 v[188:191], a[164:165], a[132:133], v[188:191]// 000000005408: D3D700BC 1EF309A4
	v_mfma_i32_16x16x32_i8 v[188:191], a[166:167], a[134:135], v[188:191]// 000000005410: D3D700BC 1EF30DA6
	v_mfma_i32_16x16x32_i8 v[224:227], a[168:169], a[128:129], v[224:227]// 000000005418: D3D700E0 1F8301A8
	v_mfma_i32_16x16x32_i8 v[224:227], a[170:171], a[130:131], v[224:227]// 000000005420: D3D700E0 1F8305AA
	v_mfma_i32_16x16x32_i8 v[224:227], a[172:173], a[132:133], v[224:227]// 000000005428: D3D700E0 1F8309AC
	v_mfma_i32_16x16x32_i8 v[224:227], a[174:175], a[134:135], v[224:227]// 000000005430: D3D700E0 1F830DAE
	v_mfma_i32_16x16x32_i8 v[192:195], a[160:161], a[136:137], v[192:195]// 000000005438: D3D700C0 1F0311A0
	s_add_u32 s60, 0x180, s80                                  // 000000005440: 803C50FF 00000180
	s_cmp_lt_u32 s60, s81                                      // 000000005448: BF0A513C
	s_cselect_b32 s57, s57, 0                                  // 00000000544C: 85398039
	v_mfma_i32_16x16x32_i8 v[192:195], a[162:163], a[138:139], v[192:195]// 000000005450: D3D700C0 1F0315A2
	s_add_u32 s60, 0x100, s80                                  // 000000005458: 803C50FF 00000100
	s_cmp_lt_u32 s60, s81                                      // 000000005460: BF0A513C
	s_cselect_b32 s58, s58, 0                                  // 000000005464: 853A803A
	v_mfma_i32_16x16x32_i8 v[192:195], a[164:165], a[140:141], v[192:195]// 000000005468: D3D700C0 1F0319A4
	s_add_u32 s60, 0x100, s80                                  // 000000005470: 803C50FF 00000100
	s_cmp_lt_u32 s60, s81                                      // 000000005478: BF0A513C
	s_cselect_b32 s83, s83, 0                                  // 00000000547C: 85538053
	v_mfma_i32_16x16x32_i8 v[192:195], a[166:167], a[142:143], v[192:195]// 000000005480: D3D700C0 1F031DA6
	s_add_u32 s24, s58, s24                                    // 000000005488: 8018183A
	s_addc_u32 s25, 0, s25                                     // 00000000548C: 82191980
	v_mfma_i32_16x16x32_i8 v[228:231], a[168:169], a[136:137], v[228:231]// 000000005490: D3D700E4 1F9311A8
	s_add_u32 s20, s57, s20                                    // 000000005498: 80141439
	s_addc_u32 s21, 0, s21                                     // 00000000549C: 82151580
	v_mfma_i32_16x16x32_i8 v[228:231], a[170:171], a[138:139], v[228:231]// 0000000054A0: D3D700E4 1F9315AA
	s_add_u32 s84, s83, s84                                    // 0000000054A8: 80545453
	s_addc_u32 s85, 0, s85                                     // 0000000054AC: 82555580
	v_mfma_i32_16x16x32_i8 v[228:231], a[172:173], a[140:141], v[228:231]// 0000000054B0: D3D700E4 1F9319AC
	v_mfma_i32_16x16x32_i8 v[228:231], a[174:175], a[142:143], v[228:231]// 0000000054B8: D3D700E4 1F931DAE
	s_addk_i32 s80, 0x80                                       // 0000000054C0: B7500080
	s_cmp_lt_i32 s80, s81                                      // 0000000054C4: BF045150
	s_cbranch_scc0 label_0E1A                                  // 0000000054C8: BF840367
	s_waitcnt vmcnt(22) lgkmcnt(0)                             // 0000000054CC: BF8C4076
	v_mfma_i32_16x16x32_i8 v[88:91], a[176:177], a[0:1], v[88:91]// 0000000054D0: D3D70058 1D6201B0
	v_mfma_i32_16x16x32_i8 v[88:91], a[178:179], a[2:3], v[88:91]// 0000000054D8: D3D70058 1D6205B2
	buffer_load_dwordx4 a[160:163], v84, s[24:27], 0 offen     // 0000000054E0: E05C1000 8086A054
	v_mfma_i32_16x16x32_i8 v[88:91], a[180:181], a[4:5], v[88:91]// 0000000054E8: D3D70058 1D6209B4
	v_mfma_i32_16x16x32_i8 v[88:91], a[182:183], a[6:7], v[88:91]// 0000000054F0: D3D70058 1D620DB6
	v_mfma_i32_16x16x32_i8 v[124:127], a[184:185], a[0:1], v[124:127]// 0000000054F8: D3D7007C 1DF201B8
	v_mfma_i32_16x16x32_i8 v[124:127], a[186:187], a[2:3], v[124:127]// 000000005500: D3D7007C 1DF205BA
	buffer_load_dwordx4 a[164:167], v84, s[24:27], 0 offen offset:1024// 000000005508: E05C1400 8086A454
	v_mfma_i32_16x16x32_i8 v[124:127], a[188:189], a[4:5], v[124:127]// 000000005510: D3D7007C 1DF209BC
	v_mfma_i32_16x16x32_i8 v[124:127], a[190:191], a[6:7], v[124:127]// 000000005518: D3D7007C 1DF20DBE
	v_mfma_i32_16x16x32_i8 v[92:95], a[176:177], a[8:9], v[92:95]// 000000005520: D3D7005C 1D7211B0
	v_mfma_i32_16x16x32_i8 v[92:95], a[178:179], a[10:11], v[92:95]// 000000005528: D3D7005C 1D7215B2
	buffer_load_dwordx4 a[168:171], v85, s[24:27], 0 offen     // 000000005530: E05C1000 8086A855
	v_mfma_i32_16x16x32_i8 v[92:95], a[180:181], a[12:13], v[92:95]// 000000005538: D3D7005C 1D7219B4
	v_mfma_i32_16x16x32_i8 v[92:95], a[182:183], a[14:15], v[92:95]// 000000005540: D3D7005C 1D721DB6
	v_mfma_i32_16x16x32_i8 v[128:131], a[184:185], a[8:9], v[128:131]// 000000005548: D3D70080 1E0211B8
	v_mfma_i32_16x16x32_i8 v[128:131], a[186:187], a[10:11], v[128:131]// 000000005550: D3D70080 1E0215BA
	buffer_load_dwordx4 a[172:175], v85, s[24:27], 0 offen offset:1024// 000000005558: E05C1400 8086AC55
	buffer_load_dword v66, s[20:23], 0 offen lds               // 000000005560: E0511000 80050042
	s_add_u32 m0, 0x100, s48                                   // 000000005568: 807C30FF 00000100
	v_mfma_i32_16x16x32_i8 v[128:131], a[188:189], a[12:13], v[128:131]// 000000005570: D3D70080 1E0219BC
	v_mfma_i32_16x16x32_i8 v[128:131], a[190:191], a[14:15], v[128:131]// 000000005578: D3D70080 1E021DBE
	buffer_load_dword v67, s[20:23], 0 offen lds               // 000000005580: E0511000 80050043
	s_add_u32 m0, 0x200, s48                                   // 000000005588: 807C30FF 00000200
	v_mfma_i32_16x16x32_i8 v[96:99], a[176:177], a[16:17], v[96:99]// 000000005590: D3D70060 1D8221B0
	v_mfma_i32_16x16x32_i8 v[96:99], a[178:179], a[18:19], v[96:99]// 000000005598: D3D70060 1D8225B2
	buffer_load_dword v68, s[20:23], 0 offen lds               // 0000000055A0: E0511000 80050044
	s_add_u32 m0, 0x300, s48                                   // 0000000055A8: 807C30FF 00000300
	v_mfma_i32_16x16x32_i8 v[96:99], a[180:181], a[20:21], v[96:99]// 0000000055B0: D3D70060 1D8229B4
	v_mfma_i32_16x16x32_i8 v[96:99], a[182:183], a[22:23], v[96:99]// 0000000055B8: D3D70060 1D822DB6
	buffer_load_dword v69, s[20:23], 0 offen lds               // 0000000055C0: E0511000 80050045
	s_add_u32 m0, 0x400, s48                                   // 0000000055C8: 807C30FF 00000400
	v_mfma_i32_16x16x32_i8 v[132:135], a[184:185], a[16:17], v[132:135]// 0000000055D0: D3D70084 1E1221B8
	v_mfma_i32_16x16x32_i8 v[132:135], a[186:187], a[18:19], v[132:135]// 0000000055D8: D3D70084 1E1225BA
	buffer_load_dword v70, s[20:23], 0 offen lds               // 0000000055E0: E0511000 80050046
	s_add_u32 m0, 0x500, s48                                   // 0000000055E8: 807C30FF 00000500
	v_mfma_i32_16x16x32_i8 v[132:135], a[188:189], a[20:21], v[132:135]// 0000000055F0: D3D70084 1E1229BC
	v_mfma_i32_16x16x32_i8 v[132:135], a[190:191], a[22:23], v[132:135]// 0000000055F8: D3D70084 1E122DBE
	buffer_load_dword v71, s[20:23], 0 offen lds               // 000000005600: E0511000 80050047
	s_add_u32 m0, 0x600, s48                                   // 000000005608: 807C30FF 00000600
	v_mfma_i32_16x16x32_i8 v[100:103], a[176:177], a[24:25], v[100:103]// 000000005610: D3D70064 1D9231B0
	v_mfma_i32_16x16x32_i8 v[100:103], a[178:179], a[26:27], v[100:103]// 000000005618: D3D70064 1D9235B2
	buffer_load_dword v72, s[20:23], 0 offen lds               // 000000005620: E0511000 80050048
	s_add_u32 m0, 0x700, s48                                   // 000000005628: 807C30FF 00000700
	v_mfma_i32_16x16x32_i8 v[100:103], a[180:181], a[28:29], v[100:103]// 000000005630: D3D70064 1D9239B4
	v_mfma_i32_16x16x32_i8 v[100:103], a[182:183], a[30:31], v[100:103]// 000000005638: D3D70064 1D923DB6
	buffer_load_dword v73, s[20:23], 0 offen lds               // 000000005640: E0511000 80050049
	s_add_u32 m0, 0x800, s48                                   // 000000005648: 807C30FF 00000800
	v_mfma_i32_16x16x32_i8 v[136:139], a[184:185], a[24:25], v[136:139]// 000000005650: D3D70088 1E2231B8
	v_mfma_i32_16x16x32_i8 v[136:139], a[186:187], a[26:27], v[136:139]// 000000005658: D3D70088 1E2235BA
	buffer_load_dword v74, s[20:23], 0 offen lds               // 000000005660: E0511000 8005004A
	s_add_u32 m0, 0x900, s48                                   // 000000005668: 807C30FF 00000900
	v_mfma_i32_16x16x32_i8 v[136:139], a[188:189], a[28:29], v[136:139]// 000000005670: D3D70088 1E2239BC
	v_mfma_i32_16x16x32_i8 v[136:139], a[190:191], a[30:31], v[136:139]// 000000005678: D3D70088 1E223DBE
	buffer_load_dword v75, s[20:23], 0 offen lds               // 000000005680: E0511000 8005004B
	s_add_u32 m0, 0xa00, s48                                   // 000000005688: 807C30FF 00000A00
	v_mfma_i32_16x16x32_i8 v[104:107], a[176:177], a[32:33], v[104:107]// 000000005690: D3D70068 1DA241B0
	v_mfma_i32_16x16x32_i8 v[104:107], a[178:179], a[34:35], v[104:107]// 000000005698: D3D70068 1DA245B2
	buffer_load_dword v76, s[20:23], 0 offen lds               // 0000000056A0: E0511000 8005004C
	s_add_u32 m0, 0xb00, s48                                   // 0000000056A8: 807C30FF 00000B00
	v_mfma_i32_16x16x32_i8 v[104:107], a[180:181], a[36:37], v[104:107]// 0000000056B0: D3D70068 1DA249B4
	v_mfma_i32_16x16x32_i8 v[104:107], a[182:183], a[38:39], v[104:107]// 0000000056B8: D3D70068 1DA24DB6
	buffer_load_dword v77, s[20:23], 0 offen lds               // 0000000056C0: E0511000 8005004D
	s_add_u32 m0, 0xc00, s48                                   // 0000000056C8: 807C30FF 00000C00
	v_mfma_i32_16x16x32_i8 v[140:143], a[184:185], a[32:33], v[140:143]// 0000000056D0: D3D7008C 1E3241B8
	v_mfma_i32_16x16x32_i8 v[140:143], a[186:187], a[34:35], v[140:143]// 0000000056D8: D3D7008C 1E3245BA
	buffer_load_dword v78, s[20:23], 0 offen lds               // 0000000056E0: E0511000 8005004E
	s_add_u32 m0, 0xd00, s48                                   // 0000000056E8: 807C30FF 00000D00
	v_mfma_i32_16x16x32_i8 v[140:143], a[188:189], a[36:37], v[140:143]// 0000000056F0: D3D7008C 1E3249BC
	v_mfma_i32_16x16x32_i8 v[140:143], a[190:191], a[38:39], v[140:143]// 0000000056F8: D3D7008C 1E324DBE
	buffer_load_dword v79, s[20:23], 0 offen lds               // 000000005700: E0511000 8005004F
	s_add_u32 m0, 0xe00, s48                                   // 000000005708: 807C30FF 00000E00
	v_mfma_i32_16x16x32_i8 v[108:111], a[176:177], a[40:41], v[108:111]// 000000005710: D3D7006C 1DB251B0
	v_mfma_i32_16x16x32_i8 v[108:111], a[178:179], a[42:43], v[108:111]// 000000005718: D3D7006C 1DB255B2
	buffer_load_dword v80, s[20:23], 0 offen lds               // 000000005720: E0511000 80050050
	s_add_u32 m0, 0xf00, s48                                   // 000000005728: 807C30FF 00000F00
	v_mfma_i32_16x16x32_i8 v[108:111], a[180:181], a[44:45], v[108:111]// 000000005730: D3D7006C 1DB259B4
	v_mfma_i32_16x16x32_i8 v[108:111], a[182:183], a[46:47], v[108:111]// 000000005738: D3D7006C 1DB25DB6
	buffer_load_dword v81, s[20:23], 0 offen lds               // 000000005740: E0511000 80050051
	s_add_u32 m0, 0x1000, s48                                  // 000000005748: 807C30FF 00001000
	v_mfma_i32_16x16x32_i8 v[144:147], a[184:185], a[40:41], v[144:147]// 000000005750: D3D70090 1E4251B8
	v_mfma_i32_16x16x32_i8 v[144:147], a[186:187], a[42:43], v[144:147]// 000000005758: D3D70090 1E4255BA
	buffer_load_dword v82, s[20:23], 0 offen lds               // 000000005760: E0511000 80050052
	s_add_u32 m0, 0x1100, s48                                  // 000000005768: 807C30FF 00001100
	v_mfma_i32_16x16x32_i8 v[144:147], a[188:189], a[44:45], v[144:147]// 000000005770: D3D70090 1E4259BC
	v_mfma_i32_16x16x32_i8 v[144:147], a[190:191], a[46:47], v[144:147]// 000000005778: D3D70090 1E425DBE
	buffer_load_dword v83, s[20:23], 0 offen lds               // 000000005780: E0511000 80050053
	s_add_u32 m0, 0, s49                                       // 000000005788: 807C3180
	v_mfma_i32_16x16x32_i8 v[112:115], a[176:177], a[48:49], v[112:115]// 00000000578C: D3D70070 1DC261B0
	v_mfma_i32_16x16x32_i8 v[112:115], a[178:179], a[50:51], v[112:115]// 000000005794: D3D70070 1DC265B2
	v_mfma_i32_16x16x32_i8 v[112:115], a[180:181], a[52:53], v[112:115]// 00000000579C: D3D70070 1DC269B4
	v_mfma_i32_16x16x32_i8 v[112:115], a[182:183], a[54:55], v[112:115]// 0000000057A4: D3D70070 1DC26DB6
	v_mfma_i32_16x16x32_i8 v[148:151], a[184:185], a[48:49], v[148:151]// 0000000057AC: D3D70094 1E5261B8
	v_mfma_i32_16x16x32_i8 v[148:151], a[186:187], a[50:51], v[148:151]// 0000000057B4: D3D70094 1E5265BA
	v_mfma_i32_16x16x32_i8 v[148:151], a[188:189], a[52:53], v[148:151]// 0000000057BC: D3D70094 1E5269BC
	v_mfma_i32_16x16x32_i8 v[148:151], a[190:191], a[54:55], v[148:151]// 0000000057C4: D3D70094 1E526DBE
	v_mfma_i32_16x16x32_i8 v[116:119], a[176:177], a[56:57], v[116:119]// 0000000057CC: D3D70074 1DD271B0
	v_mfma_i32_16x16x32_i8 v[116:119], a[178:179], a[58:59], v[116:119]// 0000000057D4: D3D70074 1DD275B2
	v_mfma_i32_16x16x32_i8 v[116:119], a[180:181], a[60:61], v[116:119]// 0000000057DC: D3D70074 1DD279B4
	v_mfma_i32_16x16x32_i8 v[116:119], a[182:183], a[62:63], v[116:119]// 0000000057E4: D3D70074 1DD27DB6
	v_mfma_i32_16x16x32_i8 v[152:155], a[184:185], a[56:57], v[152:155]// 0000000057EC: D3D70098 1E6271B8
	v_mfma_i32_16x16x32_i8 v[152:155], a[186:187], a[58:59], v[152:155]// 0000000057F4: D3D70098 1E6275BA
	v_mfma_i32_16x16x32_i8 v[152:155], a[188:189], a[60:61], v[152:155]// 0000000057FC: D3D70098 1E6279BC
	v_mfma_i32_16x16x32_i8 v[152:155], a[190:191], a[62:63], v[152:155]// 000000005804: D3D70098 1E627DBE
	v_mfma_i32_16x16x32_i8 v[120:123], a[176:177], a[64:65], v[120:123]// 00000000580C: D3D70078 1DE281B0
	v_mfma_i32_16x16x32_i8 v[120:123], a[178:179], a[66:67], v[120:123]// 000000005814: D3D70078 1DE285B2
	v_mfma_i32_16x16x32_i8 v[120:123], a[180:181], a[68:69], v[120:123]// 00000000581C: D3D70078 1DE289B4
	v_mfma_i32_16x16x32_i8 v[120:123], a[182:183], a[70:71], v[120:123]// 000000005824: D3D70078 1DE28DB6
	v_mfma_i32_16x16x32_i8 v[156:159], a[184:185], a[64:65], v[156:159]// 00000000582C: D3D7009C 1E7281B8
	v_mfma_i32_16x16x32_i8 v[156:159], a[186:187], a[66:67], v[156:159]// 000000005834: D3D7009C 1E7285BA
	v_mfma_i32_16x16x32_i8 v[156:159], a[188:189], a[68:69], v[156:159]// 00000000583C: D3D7009C 1E7289BC
	v_mfma_i32_16x16x32_i8 v[156:159], a[190:191], a[70:71], v[156:159]// 000000005844: D3D7009C 1E728DBE
	s_waitcnt vmcnt(22)                                        // 00000000584C: BF8C4F76
	s_barrier                                                  // 000000005850: BF8A0000
	v_mfma_i32_16x16x32_i8 v[160:163], a[144:145], a[0:1], v[160:163]// 000000005854: D3D700A0 1E820190
	v_mfma_i32_16x16x32_i8 v[160:163], a[146:147], a[2:3], v[160:163]// 00000000585C: D3D700A0 1E820592
	buffer_load_dwordx4 a[176:179], v84, s[84:87], 0 offen     // 000000005864: E05C1000 8095B054
	v_mfma_i32_16x16x32_i8 v[160:163], a[148:149], a[4:5], v[160:163]// 00000000586C: D3D700A0 1E820994
	v_mfma_i32_16x16x32_i8 v[160:163], a[150:151], a[6:7], v[160:163]// 000000005874: D3D700A0 1E820D96
	ds_read_b128 a[72:75], v2 offset:37120                     // 00000000587C: DBFE9100 48000002
	ds_read_b128 a[76:79], v2 offset:37184                     // 000000005884: DBFE9140 4C000002
	v_mfma_i32_16x16x32_i8 v[196:199], a[152:153], a[0:1], v[196:199]// 00000000588C: D3D700C4 1F120198
	v_mfma_i32_16x16x32_i8 v[196:199], a[154:155], a[2:3], v[196:199]// 000000005894: D3D700C4 1F12059A
	buffer_load_dwordx4 a[180:183], v84, s[84:87], 0 offen offset:1024// 00000000589C: E05C1400 8095B454
	v_mfma_i32_16x16x32_i8 v[196:199], a[156:157], a[4:5], v[196:199]// 0000000058A4: D3D700C4 1F12099C
	v_mfma_i32_16x16x32_i8 v[196:199], a[158:159], a[6:7], v[196:199]// 0000000058AC: D3D700C4 1F120D9E
	ds_read_b128 a[80:83], v2 offset:37632                     // 0000000058B4: DBFE9300 50000002
	ds_read_b128 a[84:87], v2 offset:37696                     // 0000000058BC: DBFE9340 54000002
	v_mfma_i32_16x16x32_i8 v[164:167], a[144:145], a[8:9], v[164:167]// 0000000058C4: D3D700A4 1E921190
	v_mfma_i32_16x16x32_i8 v[164:167], a[146:147], a[10:11], v[164:167]// 0000000058CC: D3D700A4 1E921592
	buffer_load_dwordx4 a[184:187], v85, s[84:87], 0 offen     // 0000000058D4: E05C1000 8095B855
	v_mfma_i32_16x16x32_i8 v[164:167], a[148:149], a[12:13], v[164:167]// 0000000058DC: D3D700A4 1E921994
	v_mfma_i32_16x16x32_i8 v[164:167], a[150:151], a[14:15], v[164:167]// 0000000058E4: D3D700A4 1E921D96
	ds_read_b128 a[88:91], v2 offset:38144                     // 0000000058EC: DBFE9500 58000002
	ds_read_b128 a[92:95], v2 offset:38208                     // 0000000058F4: DBFE9540 5C000002
	v_mfma_i32_16x16x32_i8 v[200:203], a[152:153], a[8:9], v[200:203]// 0000000058FC: D3D700C8 1F221198
	v_mfma_i32_16x16x32_i8 v[200:203], a[154:155], a[10:11], v[200:203]// 000000005904: D3D700C8 1F22159A
	buffer_load_dwordx4 a[188:191], v85, s[84:87], 0 offen offset:1024// 00000000590C: E05C1400 8095BC55
	v_mfma_i32_16x16x32_i8 v[200:203], a[156:157], a[12:13], v[200:203]// 000000005914: D3D700C8 1F22199C
	v_mfma_i32_16x16x32_i8 v[200:203], a[158:159], a[14:15], v[200:203]// 00000000591C: D3D700C8 1F221D9E
	ds_read_b128 a[96:99], v2 offset:38656                     // 000000005924: DBFE9700 60000002
	ds_read_b128 a[100:103], v2 offset:38720                   // 00000000592C: DBFE9740 64000002
	v_mfma_i32_16x16x32_i8 v[168:171], a[144:145], a[16:17], v[168:171]// 000000005934: D3D700A8 1EA22190
	v_mfma_i32_16x16x32_i8 v[168:171], a[146:147], a[18:19], v[168:171]// 00000000593C: D3D700A8 1EA22592
	v_mfma_i32_16x16x32_i8 v[168:171], a[148:149], a[20:21], v[168:171]// 000000005944: D3D700A8 1EA22994
	v_mfma_i32_16x16x32_i8 v[168:171], a[150:151], a[22:23], v[168:171]// 00000000594C: D3D700A8 1EA22D96
	ds_read_b128 a[104:107], v2 offset:39168                   // 000000005954: DBFE9900 68000002
	ds_read_b128 a[108:111], v2 offset:39232                   // 00000000595C: DBFE9940 6C000002
	v_mfma_i32_16x16x32_i8 v[204:207], a[152:153], a[16:17], v[204:207]// 000000005964: D3D700CC 1F322198
	v_mfma_i32_16x16x32_i8 v[204:207], a[154:155], a[18:19], v[204:207]// 00000000596C: D3D700CC 1F32259A
	v_mfma_i32_16x16x32_i8 v[204:207], a[156:157], a[20:21], v[204:207]// 000000005974: D3D700CC 1F32299C
	v_mfma_i32_16x16x32_i8 v[204:207], a[158:159], a[22:23], v[204:207]// 00000000597C: D3D700CC 1F322D9E
	ds_read_b128 a[112:115], v2 offset:39680                   // 000000005984: DBFE9B00 70000002
	ds_read_b128 a[116:119], v2 offset:39744                   // 00000000598C: DBFE9B40 74000002
	v_mfma_i32_16x16x32_i8 v[172:175], a[144:145], a[24:25], v[172:175]// 000000005994: D3D700AC 1EB23190
	v_mfma_i32_16x16x32_i8 v[172:175], a[146:147], a[26:27], v[172:175]// 00000000599C: D3D700AC 1EB23592
	v_mfma_i32_16x16x32_i8 v[172:175], a[148:149], a[28:29], v[172:175]// 0000000059A4: D3D700AC 1EB23994
	v_mfma_i32_16x16x32_i8 v[172:175], a[150:151], a[30:31], v[172:175]// 0000000059AC: D3D700AC 1EB23D96
	ds_read_b128 a[120:123], v2 offset:40192                   // 0000000059B4: DBFE9D00 78000002
	ds_read_b128 a[124:127], v2 offset:40256                   // 0000000059BC: DBFE9D40 7C000002
	v_mfma_i32_16x16x32_i8 v[208:211], a[152:153], a[24:25], v[208:211]// 0000000059C4: D3D700D0 1F423198
	v_mfma_i32_16x16x32_i8 v[208:211], a[154:155], a[26:27], v[208:211]// 0000000059CC: D3D700D0 1F42359A
	v_mfma_i32_16x16x32_i8 v[208:211], a[156:157], a[28:29], v[208:211]// 0000000059D4: D3D700D0 1F42399C
	v_mfma_i32_16x16x32_i8 v[208:211], a[158:159], a[30:31], v[208:211]// 0000000059DC: D3D700D0 1F423D9E
	ds_read_b128 a[128:131], v2 offset:40704                   // 0000000059E4: DBFE9F00 80000002
	ds_read_b128 a[132:135], v2 offset:40768                   // 0000000059EC: DBFE9F40 84000002
	v_mfma_i32_16x16x32_i8 v[176:179], a[144:145], a[32:33], v[176:179]// 0000000059F4: D3D700B0 1EC24190
	v_mfma_i32_16x16x32_i8 v[176:179], a[146:147], a[34:35], v[176:179]// 0000000059FC: D3D700B0 1EC24592
	v_mfma_i32_16x16x32_i8 v[176:179], a[148:149], a[36:37], v[176:179]// 000000005A04: D3D700B0 1EC24994
	v_mfma_i32_16x16x32_i8 v[176:179], a[150:151], a[38:39], v[176:179]// 000000005A0C: D3D700B0 1EC24D96
	ds_read_b128 a[136:139], v2 offset:41216                   // 000000005A14: DBFEA100 88000002
	ds_read_b128 a[140:143], v2 offset:41280                   // 000000005A1C: DBFEA140 8C000002
	v_mfma_i32_16x16x32_i8 v[212:215], a[152:153], a[32:33], v[212:215]// 000000005A24: D3D700D4 1F524198
	v_mfma_i32_16x16x32_i8 v[212:215], a[154:155], a[34:35], v[212:215]// 000000005A2C: D3D700D4 1F52459A
	v_mfma_i32_16x16x32_i8 v[212:215], a[156:157], a[36:37], v[212:215]// 000000005A34: D3D700D4 1F52499C
	v_mfma_i32_16x16x32_i8 v[212:215], a[158:159], a[38:39], v[212:215]// 000000005A3C: D3D700D4 1F524D9E
	v_mfma_i32_16x16x32_i8 v[180:183], a[144:145], a[40:41], v[180:183]// 000000005A44: D3D700B4 1ED25190
	v_mfma_i32_16x16x32_i8 v[180:183], a[146:147], a[42:43], v[180:183]// 000000005A4C: D3D700B4 1ED25592
	v_mfma_i32_16x16x32_i8 v[180:183], a[148:149], a[44:45], v[180:183]// 000000005A54: D3D700B4 1ED25994
	v_mfma_i32_16x16x32_i8 v[180:183], a[150:151], a[46:47], v[180:183]// 000000005A5C: D3D700B4 1ED25D96
	v_mfma_i32_16x16x32_i8 v[216:219], a[152:153], a[40:41], v[216:219]// 000000005A64: D3D700D8 1F625198
	v_mfma_i32_16x16x32_i8 v[216:219], a[154:155], a[42:43], v[216:219]// 000000005A6C: D3D700D8 1F62559A
	v_mfma_i32_16x16x32_i8 v[216:219], a[156:157], a[44:45], v[216:219]// 000000005A74: D3D700D8 1F62599C
	v_mfma_i32_16x16x32_i8 v[216:219], a[158:159], a[46:47], v[216:219]// 000000005A7C: D3D700D8 1F625D9E
	v_mfma_i32_16x16x32_i8 v[184:187], a[144:145], a[48:49], v[184:187]// 000000005A84: D3D700B8 1EE26190
	v_mfma_i32_16x16x32_i8 v[184:187], a[146:147], a[50:51], v[184:187]// 000000005A8C: D3D700B8 1EE26592
	v_mfma_i32_16x16x32_i8 v[184:187], a[148:149], a[52:53], v[184:187]// 000000005A94: D3D700B8 1EE26994
	v_mfma_i32_16x16x32_i8 v[184:187], a[150:151], a[54:55], v[184:187]// 000000005A9C: D3D700B8 1EE26D96
	v_mfma_i32_16x16x32_i8 v[220:223], a[152:153], a[48:49], v[220:223]// 000000005AA4: D3D700DC 1F726198
	v_mfma_i32_16x16x32_i8 v[220:223], a[154:155], a[50:51], v[220:223]// 000000005AAC: D3D700DC 1F72659A
	v_mfma_i32_16x16x32_i8 v[220:223], a[156:157], a[52:53], v[220:223]// 000000005AB4: D3D700DC 1F72699C
	v_mfma_i32_16x16x32_i8 v[220:223], a[158:159], a[54:55], v[220:223]// 000000005ABC: D3D700DC 1F726D9E
	v_mfma_i32_16x16x32_i8 v[188:191], a[144:145], a[56:57], v[188:191]// 000000005AC4: D3D700BC 1EF27190
	v_mfma_i32_16x16x32_i8 v[188:191], a[146:147], a[58:59], v[188:191]// 000000005ACC: D3D700BC 1EF27592
	v_mfma_i32_16x16x32_i8 v[188:191], a[148:149], a[60:61], v[188:191]// 000000005AD4: D3D700BC 1EF27994
	v_mfma_i32_16x16x32_i8 v[188:191], a[150:151], a[62:63], v[188:191]// 000000005ADC: D3D700BC 1EF27D96
	v_mfma_i32_16x16x32_i8 v[224:227], a[152:153], a[56:57], v[224:227]// 000000005AE4: D3D700E0 1F827198
	v_mfma_i32_16x16x32_i8 v[224:227], a[154:155], a[58:59], v[224:227]// 000000005AEC: D3D700E0 1F82759A
	v_mfma_i32_16x16x32_i8 v[224:227], a[156:157], a[60:61], v[224:227]// 000000005AF4: D3D700E0 1F82799C
	v_mfma_i32_16x16x32_i8 v[224:227], a[158:159], a[62:63], v[224:227]// 000000005AFC: D3D700E0 1F827D9E
	v_mfma_i32_16x16x32_i8 v[192:195], a[144:145], a[64:65], v[192:195]// 000000005B04: D3D700C0 1F028190
	s_add_u32 s60, 0x180, s80                                  // 000000005B0C: 803C50FF 00000180
	s_cmp_lt_u32 s60, s81                                      // 000000005B14: BF0A513C
	s_cselect_b32 s57, s57, 0                                  // 000000005B18: 85398039
	v_mfma_i32_16x16x32_i8 v[192:195], a[146:147], a[66:67], v[192:195]// 000000005B1C: D3D700C0 1F028592
	s_add_u32 s60, 0x100, s80                                  // 000000005B24: 803C50FF 00000100
	s_cmp_lt_u32 s60, s81                                      // 000000005B2C: BF0A513C
	s_cselect_b32 s58, s58, 0                                  // 000000005B30: 853A803A
	v_mfma_i32_16x16x32_i8 v[192:195], a[148:149], a[68:69], v[192:195]// 000000005B34: D3D700C0 1F028994
	s_add_u32 s60, 0x100, s80                                  // 000000005B3C: 803C50FF 00000100
	s_cmp_lt_u32 s60, s81                                      // 000000005B44: BF0A513C
	s_cselect_b32 s83, s83, 0                                  // 000000005B48: 85538053
	v_mfma_i32_16x16x32_i8 v[192:195], a[150:151], a[70:71], v[192:195]// 000000005B4C: D3D700C0 1F028D96
	s_add_u32 s24, s58, s24                                    // 000000005B54: 8018183A
	s_addc_u32 s25, 0, s25                                     // 000000005B58: 82191980
	v_mfma_i32_16x16x32_i8 v[228:231], a[152:153], a[64:65], v[228:231]// 000000005B5C: D3D700E4 1F928198
	s_add_u32 s20, s57, s20                                    // 000000005B64: 80141439
	s_addc_u32 s21, 0, s21                                     // 000000005B68: 82151580
	v_mfma_i32_16x16x32_i8 v[228:231], a[154:155], a[66:67], v[228:231]// 000000005B6C: D3D700E4 1F92859A
	s_add_u32 s84, s83, s84                                    // 000000005B74: 80545453
	s_addc_u32 s85, 0, s85                                     // 000000005B78: 82555580
	v_mfma_i32_16x16x32_i8 v[228:231], a[156:157], a[68:69], v[228:231]// 000000005B7C: D3D700E4 1F92899C
	v_mfma_i32_16x16x32_i8 v[228:231], a[158:159], a[70:71], v[228:231]// 000000005B84: D3D700E4 1F928D9E
	s_addk_i32 s80, 0x80                                       // 000000005B8C: B7500080
	s_cmp_lt_i32 s80, s81                                      // 000000005B90: BF045150
	s_cbranch_scc0 label_0E1A                                  // 000000005B94: BF8401B4
	s_waitcnt vmcnt(22) lgkmcnt(0)                             // 000000005B98: BF8C4076
	v_mfma_i32_16x16x32_i8 v[88:91], a[160:161], a[72:73], v[88:91]// 000000005B9C: D3D70058 1D6291A0
	v_mfma_i32_16x16x32_i8 v[88:91], a[162:163], a[74:75], v[88:91]// 000000005BA4: D3D70058 1D6295A2
	buffer_load_dwordx4 a[144:147], v84, s[24:27], 0 offen     // 000000005BAC: E05C1000 80869054
	v_mfma_i32_16x16x32_i8 v[88:91], a[164:165], a[76:77], v[88:91]// 000000005BB4: D3D70058 1D6299A4
	v_mfma_i32_16x16x32_i8 v[88:91], a[166:167], a[78:79], v[88:91]// 000000005BBC: D3D70058 1D629DA6
	v_mfma_i32_16x16x32_i8 v[124:127], a[168:169], a[72:73], v[124:127]// 000000005BC4: D3D7007C 1DF291A8
	v_mfma_i32_16x16x32_i8 v[124:127], a[170:171], a[74:75], v[124:127]// 000000005BCC: D3D7007C 1DF295AA
	buffer_load_dwordx4 a[148:151], v84, s[24:27], 0 offen offset:1024// 000000005BD4: E05C1400 80869454
	v_mfma_i32_16x16x32_i8 v[124:127], a[172:173], a[76:77], v[124:127]// 000000005BDC: D3D7007C 1DF299AC
	v_mfma_i32_16x16x32_i8 v[124:127], a[174:175], a[78:79], v[124:127]// 000000005BE4: D3D7007C 1DF29DAE
	v_mfma_i32_16x16x32_i8 v[92:95], a[160:161], a[80:81], v[92:95]// 000000005BEC: D3D7005C 1D72A1A0
	v_mfma_i32_16x16x32_i8 v[92:95], a[162:163], a[82:83], v[92:95]// 000000005BF4: D3D7005C 1D72A5A2
	buffer_load_dwordx4 a[152:155], v85, s[24:27], 0 offen     // 000000005BFC: E05C1000 80869855
	v_mfma_i32_16x16x32_i8 v[92:95], a[164:165], a[84:85], v[92:95]// 000000005C04: D3D7005C 1D72A9A4
	v_mfma_i32_16x16x32_i8 v[92:95], a[166:167], a[86:87], v[92:95]// 000000005C0C: D3D7005C 1D72ADA6
	v_mfma_i32_16x16x32_i8 v[128:131], a[168:169], a[80:81], v[128:131]// 000000005C14: D3D70080 1E02A1A8
	v_mfma_i32_16x16x32_i8 v[128:131], a[170:171], a[82:83], v[128:131]// 000000005C1C: D3D70080 1E02A5AA
	buffer_load_dwordx4 a[156:159], v85, s[24:27], 0 offen offset:1024// 000000005C24: E05C1400 80869C55
	buffer_load_dword v66, s[20:23], 0 offen lds               // 000000005C2C: E0511000 80050042
	s_add_u32 m0, 0x100, s49                                   // 000000005C34: 807C31FF 00000100
	v_mfma_i32_16x16x32_i8 v[128:131], a[172:173], a[84:85], v[128:131]// 000000005C3C: D3D70080 1E02A9AC
	v_mfma_i32_16x16x32_i8 v[128:131], a[174:175], a[86:87], v[128:131]// 000000005C44: D3D70080 1E02ADAE
	buffer_load_dword v67, s[20:23], 0 offen lds               // 000000005C4C: E0511000 80050043
	s_add_u32 m0, 0x200, s49                                   // 000000005C54: 807C31FF 00000200
	v_mfma_i32_16x16x32_i8 v[96:99], a[160:161], a[88:89], v[96:99]// 000000005C5C: D3D70060 1D82B1A0
	v_mfma_i32_16x16x32_i8 v[96:99], a[162:163], a[90:91], v[96:99]// 000000005C64: D3D70060 1D82B5A2
	buffer_load_dword v68, s[20:23], 0 offen lds               // 000000005C6C: E0511000 80050044
	s_add_u32 m0, 0x300, s49                                   // 000000005C74: 807C31FF 00000300
	v_mfma_i32_16x16x32_i8 v[96:99], a[164:165], a[92:93], v[96:99]// 000000005C7C: D3D70060 1D82B9A4
	v_mfma_i32_16x16x32_i8 v[96:99], a[166:167], a[94:95], v[96:99]// 000000005C84: D3D70060 1D82BDA6
	buffer_load_dword v69, s[20:23], 0 offen lds               // 000000005C8C: E0511000 80050045
	s_add_u32 m0, 0x400, s49                                   // 000000005C94: 807C31FF 00000400
	v_mfma_i32_16x16x32_i8 v[132:135], a[168:169], a[88:89], v[132:135]// 000000005C9C: D3D70084 1E12B1A8
	v_mfma_i32_16x16x32_i8 v[132:135], a[170:171], a[90:91], v[132:135]// 000000005CA4: D3D70084 1E12B5AA
	buffer_load_dword v70, s[20:23], 0 offen lds               // 000000005CAC: E0511000 80050046
	s_add_u32 m0, 0x500, s49                                   // 000000005CB4: 807C31FF 00000500
	v_mfma_i32_16x16x32_i8 v[132:135], a[172:173], a[92:93], v[132:135]// 000000005CBC: D3D70084 1E12B9AC
	v_mfma_i32_16x16x32_i8 v[132:135], a[174:175], a[94:95], v[132:135]// 000000005CC4: D3D70084 1E12BDAE
	buffer_load_dword v71, s[20:23], 0 offen lds               // 000000005CCC: E0511000 80050047
	s_add_u32 m0, 0x600, s49                                   // 000000005CD4: 807C31FF 00000600
	v_mfma_i32_16x16x32_i8 v[100:103], a[160:161], a[96:97], v[100:103]// 000000005CDC: D3D70064 1D92C1A0
	v_mfma_i32_16x16x32_i8 v[100:103], a[162:163], a[98:99], v[100:103]// 000000005CE4: D3D70064 1D92C5A2
	buffer_load_dword v72, s[20:23], 0 offen lds               // 000000005CEC: E0511000 80050048
	s_add_u32 m0, 0x700, s49                                   // 000000005CF4: 807C31FF 00000700
	v_mfma_i32_16x16x32_i8 v[100:103], a[164:165], a[100:101], v[100:103]// 000000005CFC: D3D70064 1D92C9A4
	v_mfma_i32_16x16x32_i8 v[100:103], a[166:167], a[102:103], v[100:103]// 000000005D04: D3D70064 1D92CDA6
	buffer_load_dword v73, s[20:23], 0 offen lds               // 000000005D0C: E0511000 80050049
	s_add_u32 m0, 0x800, s49                                   // 000000005D14: 807C31FF 00000800
	v_mfma_i32_16x16x32_i8 v[136:139], a[168:169], a[96:97], v[136:139]// 000000005D1C: D3D70088 1E22C1A8
	v_mfma_i32_16x16x32_i8 v[136:139], a[170:171], a[98:99], v[136:139]// 000000005D24: D3D70088 1E22C5AA
	buffer_load_dword v74, s[20:23], 0 offen lds               // 000000005D2C: E0511000 8005004A
	s_add_u32 m0, 0x900, s49                                   // 000000005D34: 807C31FF 00000900
	v_mfma_i32_16x16x32_i8 v[136:139], a[172:173], a[100:101], v[136:139]// 000000005D3C: D3D70088 1E22C9AC
	v_mfma_i32_16x16x32_i8 v[136:139], a[174:175], a[102:103], v[136:139]// 000000005D44: D3D70088 1E22CDAE
	buffer_load_dword v75, s[20:23], 0 offen lds               // 000000005D4C: E0511000 8005004B
	s_add_u32 m0, 0xa00, s49                                   // 000000005D54: 807C31FF 00000A00
	v_mfma_i32_16x16x32_i8 v[104:107], a[160:161], a[104:105], v[104:107]// 000000005D5C: D3D70068 1DA2D1A0
	v_mfma_i32_16x16x32_i8 v[104:107], a[162:163], a[106:107], v[104:107]// 000000005D64: D3D70068 1DA2D5A2
	buffer_load_dword v76, s[20:23], 0 offen lds               // 000000005D6C: E0511000 8005004C
	s_add_u32 m0, 0xb00, s49                                   // 000000005D74: 807C31FF 00000B00
	v_mfma_i32_16x16x32_i8 v[104:107], a[164:165], a[108:109], v[104:107]// 000000005D7C: D3D70068 1DA2D9A4
	v_mfma_i32_16x16x32_i8 v[104:107], a[166:167], a[110:111], v[104:107]// 000000005D84: D3D70068 1DA2DDA6
	buffer_load_dword v77, s[20:23], 0 offen lds               // 000000005D8C: E0511000 8005004D
	s_add_u32 m0, 0xc00, s49                                   // 000000005D94: 807C31FF 00000C00
	v_mfma_i32_16x16x32_i8 v[140:143], a[168:169], a[104:105], v[140:143]// 000000005D9C: D3D7008C 1E32D1A8
	v_mfma_i32_16x16x32_i8 v[140:143], a[170:171], a[106:107], v[140:143]// 000000005DA4: D3D7008C 1E32D5AA
	buffer_load_dword v78, s[20:23], 0 offen lds               // 000000005DAC: E0511000 8005004E
	s_add_u32 m0, 0xd00, s49                                   // 000000005DB4: 807C31FF 00000D00
	v_mfma_i32_16x16x32_i8 v[140:143], a[172:173], a[108:109], v[140:143]// 000000005DBC: D3D7008C 1E32D9AC
	v_mfma_i32_16x16x32_i8 v[140:143], a[174:175], a[110:111], v[140:143]// 000000005DC4: D3D7008C 1E32DDAE
	buffer_load_dword v79, s[20:23], 0 offen lds               // 000000005DCC: E0511000 8005004F
	s_add_u32 m0, 0xe00, s49                                   // 000000005DD4: 807C31FF 00000E00
	v_mfma_i32_16x16x32_i8 v[108:111], a[160:161], a[112:113], v[108:111]// 000000005DDC: D3D7006C 1DB2E1A0
	v_mfma_i32_16x16x32_i8 v[108:111], a[162:163], a[114:115], v[108:111]// 000000005DE4: D3D7006C 1DB2E5A2
	buffer_load_dword v80, s[20:23], 0 offen lds               // 000000005DEC: E0511000 80050050
	s_add_u32 m0, 0xf00, s49                                   // 000000005DF4: 807C31FF 00000F00
	v_mfma_i32_16x16x32_i8 v[108:111], a[164:165], a[116:117], v[108:111]// 000000005DFC: D3D7006C 1DB2E9A4
	v_mfma_i32_16x16x32_i8 v[108:111], a[166:167], a[118:119], v[108:111]// 000000005E04: D3D7006C 1DB2EDA6
	buffer_load_dword v81, s[20:23], 0 offen lds               // 000000005E0C: E0511000 80050051
	s_add_u32 m0, 0x1000, s49                                  // 000000005E14: 807C31FF 00001000
	v_mfma_i32_16x16x32_i8 v[144:147], a[168:169], a[112:113], v[144:147]// 000000005E1C: D3D70090 1E42E1A8
	v_mfma_i32_16x16x32_i8 v[144:147], a[170:171], a[114:115], v[144:147]// 000000005E24: D3D70090 1E42E5AA
	buffer_load_dword v82, s[20:23], 0 offen lds               // 000000005E2C: E0511000 80050052
	s_add_u32 m0, 0x1100, s49                                  // 000000005E34: 807C31FF 00001100
	v_mfma_i32_16x16x32_i8 v[144:147], a[172:173], a[116:117], v[144:147]// 000000005E3C: D3D70090 1E42E9AC
	v_mfma_i32_16x16x32_i8 v[144:147], a[174:175], a[118:119], v[144:147]// 000000005E44: D3D70090 1E42EDAE
	buffer_load_dword v83, s[20:23], 0 offen lds               // 000000005E4C: E0511000 80050053
	s_add_u32 m0, 0, s50                                       // 000000005E54: 807C3280
	v_mfma_i32_16x16x32_i8 v[112:115], a[160:161], a[120:121], v[112:115]// 000000005E58: D3D70070 1DC2F1A0
	v_mfma_i32_16x16x32_i8 v[112:115], a[162:163], a[122:123], v[112:115]// 000000005E60: D3D70070 1DC2F5A2
	v_mfma_i32_16x16x32_i8 v[112:115], a[164:165], a[124:125], v[112:115]// 000000005E68: D3D70070 1DC2F9A4
	v_mfma_i32_16x16x32_i8 v[112:115], a[166:167], a[126:127], v[112:115]// 000000005E70: D3D70070 1DC2FDA6
	v_mfma_i32_16x16x32_i8 v[148:151], a[168:169], a[120:121], v[148:151]// 000000005E78: D3D70094 1E52F1A8
	v_mfma_i32_16x16x32_i8 v[148:151], a[170:171], a[122:123], v[148:151]// 000000005E80: D3D70094 1E52F5AA
	v_mfma_i32_16x16x32_i8 v[148:151], a[172:173], a[124:125], v[148:151]// 000000005E88: D3D70094 1E52F9AC
	v_mfma_i32_16x16x32_i8 v[148:151], a[174:175], a[126:127], v[148:151]// 000000005E90: D3D70094 1E52FDAE
	v_mfma_i32_16x16x32_i8 v[116:119], a[160:161], a[128:129], v[116:119]// 000000005E98: D3D70074 1DD301A0
	v_mfma_i32_16x16x32_i8 v[116:119], a[162:163], a[130:131], v[116:119]// 000000005EA0: D3D70074 1DD305A2
	v_mfma_i32_16x16x32_i8 v[116:119], a[164:165], a[132:133], v[116:119]// 000000005EA8: D3D70074 1DD309A4
	v_mfma_i32_16x16x32_i8 v[116:119], a[166:167], a[134:135], v[116:119]// 000000005EB0: D3D70074 1DD30DA6
	v_mfma_i32_16x16x32_i8 v[152:155], a[168:169], a[128:129], v[152:155]// 000000005EB8: D3D70098 1E6301A8
	v_mfma_i32_16x16x32_i8 v[152:155], a[170:171], a[130:131], v[152:155]// 000000005EC0: D3D70098 1E6305AA
	v_mfma_i32_16x16x32_i8 v[152:155], a[172:173], a[132:133], v[152:155]// 000000005EC8: D3D70098 1E6309AC
	v_mfma_i32_16x16x32_i8 v[152:155], a[174:175], a[134:135], v[152:155]// 000000005ED0: D3D70098 1E630DAE
	v_mfma_i32_16x16x32_i8 v[120:123], a[160:161], a[136:137], v[120:123]// 000000005ED8: D3D70078 1DE311A0
	v_mfma_i32_16x16x32_i8 v[120:123], a[162:163], a[138:139], v[120:123]// 000000005EE0: D3D70078 1DE315A2
	v_mfma_i32_16x16x32_i8 v[120:123], a[164:165], a[140:141], v[120:123]// 000000005EE8: D3D70078 1DE319A4
	v_mfma_i32_16x16x32_i8 v[120:123], a[166:167], a[142:143], v[120:123]// 000000005EF0: D3D70078 1DE31DA6
	v_mfma_i32_16x16x32_i8 v[156:159], a[168:169], a[136:137], v[156:159]// 000000005EF8: D3D7009C 1E7311A8
	v_mfma_i32_16x16x32_i8 v[156:159], a[170:171], a[138:139], v[156:159]// 000000005F00: D3D7009C 1E7315AA
	v_mfma_i32_16x16x32_i8 v[156:159], a[172:173], a[140:141], v[156:159]// 000000005F08: D3D7009C 1E7319AC
	v_mfma_i32_16x16x32_i8 v[156:159], a[174:175], a[142:143], v[156:159]// 000000005F10: D3D7009C 1E731DAE
	s_waitcnt vmcnt(22)                                        // 000000005F18: BF8C4F76
	s_barrier                                                  // 000000005F1C: BF8A0000
	v_mfma_i32_16x16x32_i8 v[160:163], a[176:177], a[72:73], v[160:163]// 000000005F20: D3D700A0 1E8291B0
	v_mfma_i32_16x16x32_i8 v[160:163], a[178:179], a[74:75], v[160:163]// 000000005F28: D3D700A0 1E8295B2
	buffer_load_dwordx4 a[160:163], v84, s[84:87], 0 offen     // 000000005F30: E05C1000 8095A054
	v_mfma_i32_16x16x32_i8 v[160:163], a[180:181], a[76:77], v[160:163]// 000000005F38: D3D700A0 1E8299B4
	v_mfma_i32_16x16x32_i8 v[160:163], a[182:183], a[78:79], v[160:163]// 000000005F40: D3D700A0 1E829DB6
	ds_read_b128 a[0:3], v2                                    // 000000005F48: DBFE0000 00000002
	ds_read_b128 a[4:7], v2 offset:64                          // 000000005F50: DBFE0040 04000002
	v_mfma_i32_16x16x32_i8 v[196:199], a[184:185], a[72:73], v[196:199]// 000000005F58: D3D700C4 1F1291B8
	v_mfma_i32_16x16x32_i8 v[196:199], a[186:187], a[74:75], v[196:199]// 000000005F60: D3D700C4 1F1295BA
	buffer_load_dwordx4 a[164:167], v84, s[84:87], 0 offen offset:1024// 000000005F68: E05C1400 8095A454
	v_mfma_i32_16x16x32_i8 v[196:199], a[188:189], a[76:77], v[196:199]// 000000005F70: D3D700C4 1F1299BC
	v_mfma_i32_16x16x32_i8 v[196:199], a[190:191], a[78:79], v[196:199]// 000000005F78: D3D700C4 1F129DBE
	ds_read_b128 a[8:11], v2 offset:512                        // 000000005F80: DBFE0200 08000002
	ds_read_b128 a[12:15], v2 offset:576                       // 000000005F88: DBFE0240 0C000002
	v_mfma_i32_16x16x32_i8 v[164:167], a[176:177], a[80:81], v[164:167]// 000000005F90: D3D700A4 1E92A1B0
	v_mfma_i32_16x16x32_i8 v[164:167], a[178:179], a[82:83], v[164:167]// 000000005F98: D3D700A4 1E92A5B2
	buffer_load_dwordx4 a[168:171], v85, s[84:87], 0 offen     // 000000005FA0: E05C1000 8095A855
	v_mfma_i32_16x16x32_i8 v[164:167], a[180:181], a[84:85], v[164:167]// 000000005FA8: D3D700A4 1E92A9B4
	v_mfma_i32_16x16x32_i8 v[164:167], a[182:183], a[86:87], v[164:167]// 000000005FB0: D3D700A4 1E92ADB6
	ds_read_b128 a[16:19], v2 offset:1024                      // 000000005FB8: DBFE0400 10000002
	ds_read_b128 a[20:23], v2 offset:1088                      // 000000005FC0: DBFE0440 14000002
	v_mfma_i32_16x16x32_i8 v[200:203], a[184:185], a[80:81], v[200:203]// 000000005FC8: D3D700C8 1F22A1B8
	v_mfma_i32_16x16x32_i8 v[200:203], a[186:187], a[82:83], v[200:203]// 000000005FD0: D3D700C8 1F22A5BA
	buffer_load_dwordx4 a[172:175], v85, s[84:87], 0 offen offset:1024// 000000005FD8: E05C1400 8095AC55
	v_mfma_i32_16x16x32_i8 v[200:203], a[188:189], a[84:85], v[200:203]// 000000005FE0: D3D700C8 1F22A9BC
	v_mfma_i32_16x16x32_i8 v[200:203], a[190:191], a[86:87], v[200:203]// 000000005FE8: D3D700C8 1F22ADBE
	ds_read_b128 a[24:27], v2 offset:1536                      // 000000005FF0: DBFE0600 18000002
	ds_read_b128 a[28:31], v2 offset:1600                      // 000000005FF8: DBFE0640 1C000002
	v_mfma_i32_16x16x32_i8 v[168:171], a[176:177], a[88:89], v[168:171]// 000000006000: D3D700A8 1EA2B1B0
	v_mfma_i32_16x16x32_i8 v[168:171], a[178:179], a[90:91], v[168:171]// 000000006008: D3D700A8 1EA2B5B2
	v_mfma_i32_16x16x32_i8 v[168:171], a[180:181], a[92:93], v[168:171]// 000000006010: D3D700A8 1EA2B9B4
	v_mfma_i32_16x16x32_i8 v[168:171], a[182:183], a[94:95], v[168:171]// 000000006018: D3D700A8 1EA2BDB6
	ds_read_b128 a[32:35], v2 offset:2048                      // 000000006020: DBFE0800 20000002
	ds_read_b128 a[36:39], v2 offset:2112                      // 000000006028: DBFE0840 24000002
	v_mfma_i32_16x16x32_i8 v[204:207], a[184:185], a[88:89], v[204:207]// 000000006030: D3D700CC 1F32B1B8
	v_mfma_i32_16x16x32_i8 v[204:207], a[186:187], a[90:91], v[204:207]// 000000006038: D3D700CC 1F32B5BA
	v_mfma_i32_16x16x32_i8 v[204:207], a[188:189], a[92:93], v[204:207]// 000000006040: D3D700CC 1F32B9BC
	v_mfma_i32_16x16x32_i8 v[204:207], a[190:191], a[94:95], v[204:207]// 000000006048: D3D700CC 1F32BDBE
	ds_read_b128 a[40:43], v2 offset:2560                      // 000000006050: DBFE0A00 28000002
	ds_read_b128 a[44:47], v2 offset:2624                      // 000000006058: DBFE0A40 2C000002
	v_mfma_i32_16x16x32_i8 v[172:175], a[176:177], a[96:97], v[172:175]// 000000006060: D3D700AC 1EB2C1B0
	v_mfma_i32_16x16x32_i8 v[172:175], a[178:179], a[98:99], v[172:175]// 000000006068: D3D700AC 1EB2C5B2
	v_mfma_i32_16x16x32_i8 v[172:175], a[180:181], a[100:101], v[172:175]// 000000006070: D3D700AC 1EB2C9B4
	v_mfma_i32_16x16x32_i8 v[172:175], a[182:183], a[102:103], v[172:175]// 000000006078: D3D700AC 1EB2CDB6
	ds_read_b128 a[48:51], v2 offset:3072                      // 000000006080: DBFE0C00 30000002
	ds_read_b128 a[52:55], v2 offset:3136                      // 000000006088: DBFE0C40 34000002
	v_mfma_i32_16x16x32_i8 v[208:211], a[184:185], a[96:97], v[208:211]// 000000006090: D3D700D0 1F42C1B8
	v_mfma_i32_16x16x32_i8 v[208:211], a[186:187], a[98:99], v[208:211]// 000000006098: D3D700D0 1F42C5BA
	v_mfma_i32_16x16x32_i8 v[208:211], a[188:189], a[100:101], v[208:211]// 0000000060A0: D3D700D0 1F42C9BC
	v_mfma_i32_16x16x32_i8 v[208:211], a[190:191], a[102:103], v[208:211]// 0000000060A8: D3D700D0 1F42CDBE
	ds_read_b128 a[56:59], v2 offset:3584                      // 0000000060B0: DBFE0E00 38000002
	ds_read_b128 a[60:63], v2 offset:3648                      // 0000000060B8: DBFE0E40 3C000002
	v_mfma_i32_16x16x32_i8 v[176:179], a[176:177], a[104:105], v[176:179]// 0000000060C0: D3D700B0 1EC2D1B0
	v_mfma_i32_16x16x32_i8 v[176:179], a[178:179], a[106:107], v[176:179]// 0000000060C8: D3D700B0 1EC2D5B2
	v_mfma_i32_16x16x32_i8 v[176:179], a[180:181], a[108:109], v[176:179]// 0000000060D0: D3D700B0 1EC2D9B4
	v_mfma_i32_16x16x32_i8 v[176:179], a[182:183], a[110:111], v[176:179]// 0000000060D8: D3D700B0 1EC2DDB6
	ds_read_b128 a[64:67], v2 offset:4096                      // 0000000060E0: DBFE1000 40000002
	ds_read_b128 a[68:71], v2 offset:4160                      // 0000000060E8: DBFE1040 44000002
	v_mfma_i32_16x16x32_i8 v[212:215], a[184:185], a[104:105], v[212:215]// 0000000060F0: D3D700D4 1F52D1B8
	v_mfma_i32_16x16x32_i8 v[212:215], a[186:187], a[106:107], v[212:215]// 0000000060F8: D3D700D4 1F52D5BA
	v_mfma_i32_16x16x32_i8 v[212:215], a[188:189], a[108:109], v[212:215]// 000000006100: D3D700D4 1F52D9BC
	v_mfma_i32_16x16x32_i8 v[212:215], a[190:191], a[110:111], v[212:215]// 000000006108: D3D700D4 1F52DDBE
	v_mfma_i32_16x16x32_i8 v[180:183], a[176:177], a[112:113], v[180:183]// 000000006110: D3D700B4 1ED2E1B0
	v_mfma_i32_16x16x32_i8 v[180:183], a[178:179], a[114:115], v[180:183]// 000000006118: D3D700B4 1ED2E5B2
	v_mfma_i32_16x16x32_i8 v[180:183], a[180:181], a[116:117], v[180:183]// 000000006120: D3D700B4 1ED2E9B4
	v_mfma_i32_16x16x32_i8 v[180:183], a[182:183], a[118:119], v[180:183]// 000000006128: D3D700B4 1ED2EDB6
	v_mfma_i32_16x16x32_i8 v[216:219], a[184:185], a[112:113], v[216:219]// 000000006130: D3D700D8 1F62E1B8
	v_mfma_i32_16x16x32_i8 v[216:219], a[186:187], a[114:115], v[216:219]// 000000006138: D3D700D8 1F62E5BA
	v_mfma_i32_16x16x32_i8 v[216:219], a[188:189], a[116:117], v[216:219]// 000000006140: D3D700D8 1F62E9BC
	v_mfma_i32_16x16x32_i8 v[216:219], a[190:191], a[118:119], v[216:219]// 000000006148: D3D700D8 1F62EDBE
	v_mfma_i32_16x16x32_i8 v[184:187], a[176:177], a[120:121], v[184:187]// 000000006150: D3D700B8 1EE2F1B0
	v_mfma_i32_16x16x32_i8 v[184:187], a[178:179], a[122:123], v[184:187]// 000000006158: D3D700B8 1EE2F5B2
	v_mfma_i32_16x16x32_i8 v[184:187], a[180:181], a[124:125], v[184:187]// 000000006160: D3D700B8 1EE2F9B4
	v_mfma_i32_16x16x32_i8 v[184:187], a[182:183], a[126:127], v[184:187]// 000000006168: D3D700B8 1EE2FDB6
	v_mfma_i32_16x16x32_i8 v[220:223], a[184:185], a[120:121], v[220:223]// 000000006170: D3D700DC 1F72F1B8
	v_mfma_i32_16x16x32_i8 v[220:223], a[186:187], a[122:123], v[220:223]// 000000006178: D3D700DC 1F72F5BA
	v_mfma_i32_16x16x32_i8 v[220:223], a[188:189], a[124:125], v[220:223]// 000000006180: D3D700DC 1F72F9BC
	v_mfma_i32_16x16x32_i8 v[220:223], a[190:191], a[126:127], v[220:223]// 000000006188: D3D700DC 1F72FDBE
	v_mfma_i32_16x16x32_i8 v[188:191], a[176:177], a[128:129], v[188:191]// 000000006190: D3D700BC 1EF301B0
	v_mfma_i32_16x16x32_i8 v[188:191], a[178:179], a[130:131], v[188:191]// 000000006198: D3D700BC 1EF305B2
	v_mfma_i32_16x16x32_i8 v[188:191], a[180:181], a[132:133], v[188:191]// 0000000061A0: D3D700BC 1EF309B4
	v_mfma_i32_16x16x32_i8 v[188:191], a[182:183], a[134:135], v[188:191]// 0000000061A8: D3D700BC 1EF30DB6
	v_mfma_i32_16x16x32_i8 v[224:227], a[184:185], a[128:129], v[224:227]// 0000000061B0: D3D700E0 1F8301B8
	v_mfma_i32_16x16x32_i8 v[224:227], a[186:187], a[130:131], v[224:227]// 0000000061B8: D3D700E0 1F8305BA
	v_mfma_i32_16x16x32_i8 v[224:227], a[188:189], a[132:133], v[224:227]// 0000000061C0: D3D700E0 1F8309BC
	v_mfma_i32_16x16x32_i8 v[224:227], a[190:191], a[134:135], v[224:227]// 0000000061C8: D3D700E0 1F830DBE
	v_mfma_i32_16x16x32_i8 v[192:195], a[176:177], a[136:137], v[192:195]// 0000000061D0: D3D700C0 1F0311B0
	s_add_u32 s60, 0x180, s80                                  // 0000000061D8: 803C50FF 00000180
	s_cmp_lt_u32 s60, s81                                      // 0000000061E0: BF0A513C
	s_cselect_b32 s57, s57, 0                                  // 0000000061E4: 85398039
	v_mfma_i32_16x16x32_i8 v[192:195], a[178:179], a[138:139], v[192:195]// 0000000061E8: D3D700C0 1F0315B2
	s_add_u32 s60, 0x100, s80                                  // 0000000061F0: 803C50FF 00000100
	s_cmp_lt_u32 s60, s81                                      // 0000000061F8: BF0A513C
	s_cselect_b32 s58, s58, 0                                  // 0000000061FC: 853A803A
	v_mfma_i32_16x16x32_i8 v[192:195], a[180:181], a[140:141], v[192:195]// 000000006200: D3D700C0 1F0319B4
	s_add_u32 s60, 0x100, s80                                  // 000000006208: 803C50FF 00000100
	s_cmp_lt_u32 s60, s81                                      // 000000006210: BF0A513C
	s_cselect_b32 s83, s83, 0                                  // 000000006214: 85538053
	v_mfma_i32_16x16x32_i8 v[192:195], a[182:183], a[142:143], v[192:195]// 000000006218: D3D700C0 1F031DB6
	s_add_u32 s24, s58, s24                                    // 000000006220: 8018183A
	s_addc_u32 s25, 0, s25                                     // 000000006224: 82191980
	v_mfma_i32_16x16x32_i8 v[228:231], a[184:185], a[136:137], v[228:231]// 000000006228: D3D700E4 1F9311B8
	s_add_u32 s20, s57, s20                                    // 000000006230: 80141439
	s_addc_u32 s21, 0, s21                                     // 000000006234: 82151580
	v_mfma_i32_16x16x32_i8 v[228:231], a[186:187], a[138:139], v[228:231]// 000000006238: D3D700E4 1F9315BA
	s_add_u32 s84, s83, s84                                    // 000000006240: 80545453
	s_addc_u32 s85, 0, s85                                     // 000000006244: 82555580
	v_mfma_i32_16x16x32_i8 v[228:231], a[188:189], a[140:141], v[228:231]// 000000006248: D3D700E4 1F9319BC
	v_mfma_i32_16x16x32_i8 v[228:231], a[190:191], a[142:143], v[228:231]// 000000006250: D3D700E4 1F931DBE
	s_addk_i32 s80, 0x80                                       // 000000006258: B7500080
	s_cmp_lt_i32 s80, s81                                      // 00000000625C: BF045150
	s_cbranch_scc0 label_0E1A                                  // 000000006260: BF840001
	s_branch label_03E7                                        // 000000006264: BF82F5CD

0000000000006268 <label_0E1A>:
	v_cvt_f32_i32_e32 v88, v88                                 // 000000006268: 7EB00B58
	v_cvt_f32_i32_e32 v89, v89                                 // 00000000626C: 7EB20B59
	v_cvt_f32_i32_e32 v90, v90                                 // 000000006270: 7EB40B5A
	v_cvt_f32_i32_e32 v91, v91                                 // 000000006274: 7EB60B5B
	v_mul_f32_dpp v88, v24, v88 row_newbcast:0 row_mask:0xf bank_mask:0xf// 000000006278: 0AB0B0FA FF015018
	v_mul_f32_dpp v89, v24, v89 row_newbcast:1 row_mask:0xf bank_mask:0xf// 000000006280: 0AB2B2FA FF015118
	v_mul_f32_dpp v90, v24, v90 row_newbcast:2 row_mask:0xf bank_mask:0xf// 000000006288: 0AB4B4FA FF015218
	v_mul_f32_dpp v91, v24, v91 row_newbcast:3 row_mask:0xf bank_mask:0xf// 000000006290: 0AB6B6FA FF015318
	v_cvt_f32_i32_e32 v92, v92                                 // 000000006298: 7EB80B5C
	v_cvt_f32_i32_e32 v93, v93                                 // 00000000629C: 7EBA0B5D
	v_cvt_f32_i32_e32 v94, v94                                 // 0000000062A0: 7EBC0B5E
	v_cvt_f32_i32_e32 v95, v95                                 // 0000000062A4: 7EBE0B5F
	v_mul_f32_dpp v92, v24, v92 row_newbcast:0 row_mask:0xf bank_mask:0xf// 0000000062A8: 0AB8B8FA FF015018
	v_mul_f32_dpp v93, v24, v93 row_newbcast:1 row_mask:0xf bank_mask:0xf// 0000000062B0: 0ABABAFA FF015118
	v_mul_f32_dpp v94, v24, v94 row_newbcast:2 row_mask:0xf bank_mask:0xf// 0000000062B8: 0ABCBCFA FF015218
	v_mul_f32_dpp v95, v24, v95 row_newbcast:3 row_mask:0xf bank_mask:0xf// 0000000062C0: 0ABEBEFA FF015318
	v_cvt_f32_i32_e32 v96, v96                                 // 0000000062C8: 7EC00B60
	v_cvt_f32_i32_e32 v97, v97                                 // 0000000062CC: 7EC20B61
	v_cvt_f32_i32_e32 v98, v98                                 // 0000000062D0: 7EC40B62
	v_cvt_f32_i32_e32 v99, v99                                 // 0000000062D4: 7EC60B63
	v_mul_f32_dpp v96, v24, v96 row_newbcast:0 row_mask:0xf bank_mask:0xf// 0000000062D8: 0AC0C0FA FF015018
	v_mul_f32_dpp v97, v24, v97 row_newbcast:1 row_mask:0xf bank_mask:0xf// 0000000062E0: 0AC2C2FA FF015118
	v_mul_f32_dpp v98, v24, v98 row_newbcast:2 row_mask:0xf bank_mask:0xf// 0000000062E8: 0AC4C4FA FF015218
	v_mul_f32_dpp v99, v24, v99 row_newbcast:3 row_mask:0xf bank_mask:0xf// 0000000062F0: 0AC6C6FA FF015318
	v_cvt_f32_i32_e32 v100, v100                               // 0000000062F8: 7EC80B64
	v_cvt_f32_i32_e32 v101, v101                               // 0000000062FC: 7ECA0B65
	v_cvt_f32_i32_e32 v102, v102                               // 000000006300: 7ECC0B66
	v_cvt_f32_i32_e32 v103, v103                               // 000000006304: 7ECE0B67
	v_mul_f32_dpp v100, v24, v100 row_newbcast:0 row_mask:0xf bank_mask:0xf// 000000006308: 0AC8C8FA FF015018
	v_mul_f32_dpp v101, v24, v101 row_newbcast:1 row_mask:0xf bank_mask:0xf// 000000006310: 0ACACAFA FF015118
	v_mul_f32_dpp v102, v24, v102 row_newbcast:2 row_mask:0xf bank_mask:0xf// 000000006318: 0ACCCCFA FF015218
	v_mul_f32_dpp v103, v24, v103 row_newbcast:3 row_mask:0xf bank_mask:0xf// 000000006320: 0ACECEFA FF015318
	v_cvt_f32_i32_e32 v104, v104                               // 000000006328: 7ED00B68
	v_cvt_f32_i32_e32 v105, v105                               // 00000000632C: 7ED20B69
	v_cvt_f32_i32_e32 v106, v106                               // 000000006330: 7ED40B6A
	v_cvt_f32_i32_e32 v107, v107                               // 000000006334: 7ED60B6B
	v_mul_f32_dpp v104, v24, v104 row_newbcast:0 row_mask:0xf bank_mask:0xf// 000000006338: 0AD0D0FA FF015018
	v_mul_f32_dpp v105, v24, v105 row_newbcast:1 row_mask:0xf bank_mask:0xf// 000000006340: 0AD2D2FA FF015118
	v_mul_f32_dpp v106, v24, v106 row_newbcast:2 row_mask:0xf bank_mask:0xf// 000000006348: 0AD4D4FA FF015218
	v_mul_f32_dpp v107, v24, v107 row_newbcast:3 row_mask:0xf bank_mask:0xf// 000000006350: 0AD6D6FA FF015318
	v_cvt_f32_i32_e32 v108, v108                               // 000000006358: 7ED80B6C
	v_cvt_f32_i32_e32 v109, v109                               // 00000000635C: 7EDA0B6D
	v_cvt_f32_i32_e32 v110, v110                               // 000000006360: 7EDC0B6E
	v_cvt_f32_i32_e32 v111, v111                               // 000000006364: 7EDE0B6F
	v_mul_f32_dpp v108, v24, v108 row_newbcast:0 row_mask:0xf bank_mask:0xf// 000000006368: 0AD8D8FA FF015018
	v_mul_f32_dpp v109, v24, v109 row_newbcast:1 row_mask:0xf bank_mask:0xf// 000000006370: 0ADADAFA FF015118
	v_mul_f32_dpp v110, v24, v110 row_newbcast:2 row_mask:0xf bank_mask:0xf// 000000006378: 0ADCDCFA FF015218
	v_mul_f32_dpp v111, v24, v111 row_newbcast:3 row_mask:0xf bank_mask:0xf// 000000006380: 0ADEDEFA FF015318
	v_cvt_f32_i32_e32 v112, v112                               // 000000006388: 7EE00B70
	v_cvt_f32_i32_e32 v113, v113                               // 00000000638C: 7EE20B71
	v_cvt_f32_i32_e32 v114, v114                               // 000000006390: 7EE40B72
	v_cvt_f32_i32_e32 v115, v115                               // 000000006394: 7EE60B73
	v_mul_f32_dpp v112, v24, v112 row_newbcast:0 row_mask:0xf bank_mask:0xf// 000000006398: 0AE0E0FA FF015018
	v_mul_f32_dpp v113, v24, v113 row_newbcast:1 row_mask:0xf bank_mask:0xf// 0000000063A0: 0AE2E2FA FF015118
	v_mul_f32_dpp v114, v24, v114 row_newbcast:2 row_mask:0xf bank_mask:0xf// 0000000063A8: 0AE4E4FA FF015218
	v_mul_f32_dpp v115, v24, v115 row_newbcast:3 row_mask:0xf bank_mask:0xf// 0000000063B0: 0AE6E6FA FF015318
	v_cvt_f32_i32_e32 v116, v116                               // 0000000063B8: 7EE80B74
	v_cvt_f32_i32_e32 v117, v117                               // 0000000063BC: 7EEA0B75
	v_cvt_f32_i32_e32 v118, v118                               // 0000000063C0: 7EEC0B76
	v_cvt_f32_i32_e32 v119, v119                               // 0000000063C4: 7EEE0B77
	v_mul_f32_dpp v116, v24, v116 row_newbcast:0 row_mask:0xf bank_mask:0xf// 0000000063C8: 0AE8E8FA FF015018
	v_mul_f32_dpp v117, v24, v117 row_newbcast:1 row_mask:0xf bank_mask:0xf// 0000000063D0: 0AEAEAFA FF015118
	v_mul_f32_dpp v118, v24, v118 row_newbcast:2 row_mask:0xf bank_mask:0xf// 0000000063D8: 0AECECFA FF015218
	v_mul_f32_dpp v119, v24, v119 row_newbcast:3 row_mask:0xf bank_mask:0xf// 0000000063E0: 0AEEEEFA FF015318
	v_cvt_f32_i32_e32 v120, v120                               // 0000000063E8: 7EF00B78
	v_cvt_f32_i32_e32 v121, v121                               // 0000000063EC: 7EF20B79
	v_cvt_f32_i32_e32 v122, v122                               // 0000000063F0: 7EF40B7A
	v_cvt_f32_i32_e32 v123, v123                               // 0000000063F4: 7EF60B7B
	v_mul_f32_dpp v120, v24, v120 row_newbcast:0 row_mask:0xf bank_mask:0xf// 0000000063F8: 0AF0F0FA FF015018
	v_mul_f32_dpp v121, v24, v121 row_newbcast:1 row_mask:0xf bank_mask:0xf// 000000006400: 0AF2F2FA FF015118
	v_mul_f32_dpp v122, v24, v122 row_newbcast:2 row_mask:0xf bank_mask:0xf// 000000006408: 0AF4F4FA FF015218
	v_mul_f32_dpp v123, v24, v123 row_newbcast:3 row_mask:0xf bank_mask:0xf// 000000006410: 0AF6F6FA FF015318
	v_cvt_f32_i32_e32 v124, v124                               // 000000006418: 7EF80B7C
	v_cvt_f32_i32_e32 v125, v125                               // 00000000641C: 7EFA0B7D
	v_cvt_f32_i32_e32 v126, v126                               // 000000006420: 7EFC0B7E
	v_cvt_f32_i32_e32 v127, v127                               // 000000006424: 7EFE0B7F
	v_mul_f32_dpp v124, v24, v124 row_newbcast:4 row_mask:0xf bank_mask:0xf// 000000006428: 0AF8F8FA FF015418
	v_mul_f32_dpp v125, v24, v125 row_newbcast:5 row_mask:0xf bank_mask:0xf// 000000006430: 0AFAFAFA FF015518
	v_mul_f32_dpp v126, v24, v126 row_newbcast:6 row_mask:0xf bank_mask:0xf// 000000006438: 0AFCFCFA FF015618
	v_mul_f32_dpp v127, v24, v127 row_newbcast:7 row_mask:0xf bank_mask:0xf// 000000006440: 0AFEFEFA FF015718
	v_cvt_f32_i32_e32 v128, v128                               // 000000006448: 7F000B80
	v_cvt_f32_i32_e32 v129, v129                               // 00000000644C: 7F020B81
	v_cvt_f32_i32_e32 v130, v130                               // 000000006450: 7F040B82
	v_cvt_f32_i32_e32 v131, v131                               // 000000006454: 7F060B83
	v_mul_f32_dpp v128, v24, v128 row_newbcast:4 row_mask:0xf bank_mask:0xf// 000000006458: 0B0100FA FF015418
	v_mul_f32_dpp v129, v24, v129 row_newbcast:5 row_mask:0xf bank_mask:0xf// 000000006460: 0B0302FA FF015518
	v_mul_f32_dpp v130, v24, v130 row_newbcast:6 row_mask:0xf bank_mask:0xf// 000000006468: 0B0504FA FF015618
	v_mul_f32_dpp v131, v24, v131 row_newbcast:7 row_mask:0xf bank_mask:0xf// 000000006470: 0B0706FA FF015718
	v_cvt_f32_i32_e32 v132, v132                               // 000000006478: 7F080B84
	v_cvt_f32_i32_e32 v133, v133                               // 00000000647C: 7F0A0B85
	v_cvt_f32_i32_e32 v134, v134                               // 000000006480: 7F0C0B86
	v_cvt_f32_i32_e32 v135, v135                               // 000000006484: 7F0E0B87
	v_mul_f32_dpp v132, v24, v132 row_newbcast:4 row_mask:0xf bank_mask:0xf// 000000006488: 0B0908FA FF015418
	v_mul_f32_dpp v133, v24, v133 row_newbcast:5 row_mask:0xf bank_mask:0xf// 000000006490: 0B0B0AFA FF015518
	v_mul_f32_dpp v134, v24, v134 row_newbcast:6 row_mask:0xf bank_mask:0xf// 000000006498: 0B0D0CFA FF015618
	v_mul_f32_dpp v135, v24, v135 row_newbcast:7 row_mask:0xf bank_mask:0xf// 0000000064A0: 0B0F0EFA FF015718
	v_cvt_f32_i32_e32 v136, v136                               // 0000000064A8: 7F100B88
	v_cvt_f32_i32_e32 v137, v137                               // 0000000064AC: 7F120B89
	v_cvt_f32_i32_e32 v138, v138                               // 0000000064B0: 7F140B8A
	v_cvt_f32_i32_e32 v139, v139                               // 0000000064B4: 7F160B8B
	v_mul_f32_dpp v136, v24, v136 row_newbcast:4 row_mask:0xf bank_mask:0xf// 0000000064B8: 0B1110FA FF015418
	v_mul_f32_dpp v137, v24, v137 row_newbcast:5 row_mask:0xf bank_mask:0xf// 0000000064C0: 0B1312FA FF015518
	v_mul_f32_dpp v138, v24, v138 row_newbcast:6 row_mask:0xf bank_mask:0xf// 0000000064C8: 0B1514FA FF015618
	v_mul_f32_dpp v139, v24, v139 row_newbcast:7 row_mask:0xf bank_mask:0xf// 0000000064D0: 0B1716FA FF015718
	v_cvt_f32_i32_e32 v140, v140                               // 0000000064D8: 7F180B8C
	v_cvt_f32_i32_e32 v141, v141                               // 0000000064DC: 7F1A0B8D
	v_cvt_f32_i32_e32 v142, v142                               // 0000000064E0: 7F1C0B8E
	v_cvt_f32_i32_e32 v143, v143                               // 0000000064E4: 7F1E0B8F
	v_mul_f32_dpp v140, v24, v140 row_newbcast:4 row_mask:0xf bank_mask:0xf// 0000000064E8: 0B1918FA FF015418
	v_mul_f32_dpp v141, v24, v141 row_newbcast:5 row_mask:0xf bank_mask:0xf// 0000000064F0: 0B1B1AFA FF015518
	v_mul_f32_dpp v142, v24, v142 row_newbcast:6 row_mask:0xf bank_mask:0xf// 0000000064F8: 0B1D1CFA FF015618
	v_mul_f32_dpp v143, v24, v143 row_newbcast:7 row_mask:0xf bank_mask:0xf// 000000006500: 0B1F1EFA FF015718
	v_cvt_f32_i32_e32 v144, v144                               // 000000006508: 7F200B90
	v_cvt_f32_i32_e32 v145, v145                               // 00000000650C: 7F220B91
	v_cvt_f32_i32_e32 v146, v146                               // 000000006510: 7F240B92
	v_cvt_f32_i32_e32 v147, v147                               // 000000006514: 7F260B93
	v_mul_f32_dpp v144, v24, v144 row_newbcast:4 row_mask:0xf bank_mask:0xf// 000000006518: 0B2120FA FF015418
	v_mul_f32_dpp v145, v24, v145 row_newbcast:5 row_mask:0xf bank_mask:0xf// 000000006520: 0B2322FA FF015518
	v_mul_f32_dpp v146, v24, v146 row_newbcast:6 row_mask:0xf bank_mask:0xf// 000000006528: 0B2524FA FF015618
	v_mul_f32_dpp v147, v24, v147 row_newbcast:7 row_mask:0xf bank_mask:0xf// 000000006530: 0B2726FA FF015718
	v_cvt_f32_i32_e32 v148, v148                               // 000000006538: 7F280B94
	v_cvt_f32_i32_e32 v149, v149                               // 00000000653C: 7F2A0B95
	v_cvt_f32_i32_e32 v150, v150                               // 000000006540: 7F2C0B96
	v_cvt_f32_i32_e32 v151, v151                               // 000000006544: 7F2E0B97
	v_mul_f32_dpp v148, v24, v148 row_newbcast:4 row_mask:0xf bank_mask:0xf// 000000006548: 0B2928FA FF015418
	v_mul_f32_dpp v149, v24, v149 row_newbcast:5 row_mask:0xf bank_mask:0xf// 000000006550: 0B2B2AFA FF015518
	v_mul_f32_dpp v150, v24, v150 row_newbcast:6 row_mask:0xf bank_mask:0xf// 000000006558: 0B2D2CFA FF015618
	v_mul_f32_dpp v151, v24, v151 row_newbcast:7 row_mask:0xf bank_mask:0xf// 000000006560: 0B2F2EFA FF015718
	v_cvt_f32_i32_e32 v152, v152                               // 000000006568: 7F300B98
	v_cvt_f32_i32_e32 v153, v153                               // 00000000656C: 7F320B99
	v_cvt_f32_i32_e32 v154, v154                               // 000000006570: 7F340B9A
	v_cvt_f32_i32_e32 v155, v155                               // 000000006574: 7F360B9B
	v_mul_f32_dpp v152, v24, v152 row_newbcast:4 row_mask:0xf bank_mask:0xf// 000000006578: 0B3130FA FF015418
	v_mul_f32_dpp v153, v24, v153 row_newbcast:5 row_mask:0xf bank_mask:0xf// 000000006580: 0B3332FA FF015518
	v_mul_f32_dpp v154, v24, v154 row_newbcast:6 row_mask:0xf bank_mask:0xf// 000000006588: 0B3534FA FF015618
	v_mul_f32_dpp v155, v24, v155 row_newbcast:7 row_mask:0xf bank_mask:0xf// 000000006590: 0B3736FA FF015718
	v_cvt_f32_i32_e32 v156, v156                               // 000000006598: 7F380B9C
	v_cvt_f32_i32_e32 v157, v157                               // 00000000659C: 7F3A0B9D
	v_cvt_f32_i32_e32 v158, v158                               // 0000000065A0: 7F3C0B9E
	v_cvt_f32_i32_e32 v159, v159                               // 0000000065A4: 7F3E0B9F
	v_mul_f32_dpp v156, v24, v156 row_newbcast:4 row_mask:0xf bank_mask:0xf// 0000000065A8: 0B3938FA FF015418
	v_mul_f32_dpp v157, v24, v157 row_newbcast:5 row_mask:0xf bank_mask:0xf// 0000000065B0: 0B3B3AFA FF015518
	v_mul_f32_dpp v158, v24, v158 row_newbcast:6 row_mask:0xf bank_mask:0xf// 0000000065B8: 0B3D3CFA FF015618
	v_mul_f32_dpp v159, v24, v159 row_newbcast:7 row_mask:0xf bank_mask:0xf// 0000000065C0: 0B3F3EFA FF015718
	v_cvt_f32_i32_e32 v160, v160                               // 0000000065C8: 7F400BA0
	v_cvt_f32_i32_e32 v161, v161                               // 0000000065CC: 7F420BA1
	v_cvt_f32_i32_e32 v162, v162                               // 0000000065D0: 7F440BA2
	v_cvt_f32_i32_e32 v163, v163                               // 0000000065D4: 7F460BA3
	v_mul_f32_dpp v160, v27, v160 row_newbcast:0 row_mask:0xf bank_mask:0xf// 0000000065D8: 0B4140FA FF01501B
	v_mul_f32_dpp v161, v27, v161 row_newbcast:1 row_mask:0xf bank_mask:0xf// 0000000065E0: 0B4342FA FF01511B
	v_mul_f32_dpp v162, v27, v162 row_newbcast:2 row_mask:0xf bank_mask:0xf// 0000000065E8: 0B4544FA FF01521B
	v_mul_f32_dpp v163, v27, v163 row_newbcast:3 row_mask:0xf bank_mask:0xf// 0000000065F0: 0B4746FA FF01531B
	v_cvt_f32_i32_e32 v164, v164                               // 0000000065F8: 7F480BA4
	v_cvt_f32_i32_e32 v165, v165                               // 0000000065FC: 7F4A0BA5
	v_cvt_f32_i32_e32 v166, v166                               // 000000006600: 7F4C0BA6
	v_cvt_f32_i32_e32 v167, v167                               // 000000006604: 7F4E0BA7
	v_mul_f32_dpp v164, v27, v164 row_newbcast:0 row_mask:0xf bank_mask:0xf// 000000006608: 0B4948FA FF01501B
	v_mul_f32_dpp v165, v27, v165 row_newbcast:1 row_mask:0xf bank_mask:0xf// 000000006610: 0B4B4AFA FF01511B
	v_mul_f32_dpp v166, v27, v166 row_newbcast:2 row_mask:0xf bank_mask:0xf// 000000006618: 0B4D4CFA FF01521B
	v_mul_f32_dpp v167, v27, v167 row_newbcast:3 row_mask:0xf bank_mask:0xf// 000000006620: 0B4F4EFA FF01531B
	v_cvt_f32_i32_e32 v168, v168                               // 000000006628: 7F500BA8
	v_cvt_f32_i32_e32 v169, v169                               // 00000000662C: 7F520BA9
	v_cvt_f32_i32_e32 v170, v170                               // 000000006630: 7F540BAA
	v_cvt_f32_i32_e32 v171, v171                               // 000000006634: 7F560BAB
	v_mul_f32_dpp v168, v27, v168 row_newbcast:0 row_mask:0xf bank_mask:0xf// 000000006638: 0B5150FA FF01501B
	v_mul_f32_dpp v169, v27, v169 row_newbcast:1 row_mask:0xf bank_mask:0xf// 000000006640: 0B5352FA FF01511B
	v_mul_f32_dpp v170, v27, v170 row_newbcast:2 row_mask:0xf bank_mask:0xf// 000000006648: 0B5554FA FF01521B
	v_mul_f32_dpp v171, v27, v171 row_newbcast:3 row_mask:0xf bank_mask:0xf// 000000006650: 0B5756FA FF01531B
	v_cvt_f32_i32_e32 v172, v172                               // 000000006658: 7F580BAC
	v_cvt_f32_i32_e32 v173, v173                               // 00000000665C: 7F5A0BAD
	v_cvt_f32_i32_e32 v174, v174                               // 000000006660: 7F5C0BAE
	v_cvt_f32_i32_e32 v175, v175                               // 000000006664: 7F5E0BAF
	v_mul_f32_dpp v172, v27, v172 row_newbcast:0 row_mask:0xf bank_mask:0xf// 000000006668: 0B5958FA FF01501B
	v_mul_f32_dpp v173, v27, v173 row_newbcast:1 row_mask:0xf bank_mask:0xf// 000000006670: 0B5B5AFA FF01511B
	v_mul_f32_dpp v174, v27, v174 row_newbcast:2 row_mask:0xf bank_mask:0xf// 000000006678: 0B5D5CFA FF01521B
	v_mul_f32_dpp v175, v27, v175 row_newbcast:3 row_mask:0xf bank_mask:0xf// 000000006680: 0B5F5EFA FF01531B
	v_cvt_f32_i32_e32 v176, v176                               // 000000006688: 7F600BB0
	v_cvt_f32_i32_e32 v177, v177                               // 00000000668C: 7F620BB1
	v_cvt_f32_i32_e32 v178, v178                               // 000000006690: 7F640BB2
	v_cvt_f32_i32_e32 v179, v179                               // 000000006694: 7F660BB3
	v_mul_f32_dpp v176, v27, v176 row_newbcast:0 row_mask:0xf bank_mask:0xf// 000000006698: 0B6160FA FF01501B
	v_mul_f32_dpp v177, v27, v177 row_newbcast:1 row_mask:0xf bank_mask:0xf// 0000000066A0: 0B6362FA FF01511B
	v_mul_f32_dpp v178, v27, v178 row_newbcast:2 row_mask:0xf bank_mask:0xf// 0000000066A8: 0B6564FA FF01521B
	v_mul_f32_dpp v179, v27, v179 row_newbcast:3 row_mask:0xf bank_mask:0xf// 0000000066B0: 0B6766FA FF01531B
	v_cvt_f32_i32_e32 v180, v180                               // 0000000066B8: 7F680BB4
	v_cvt_f32_i32_e32 v181, v181                               // 0000000066BC: 7F6A0BB5
	v_cvt_f32_i32_e32 v182, v182                               // 0000000066C0: 7F6C0BB6
	v_cvt_f32_i32_e32 v183, v183                               // 0000000066C4: 7F6E0BB7
	v_mul_f32_dpp v180, v27, v180 row_newbcast:0 row_mask:0xf bank_mask:0xf// 0000000066C8: 0B6968FA FF01501B
	v_mul_f32_dpp v181, v27, v181 row_newbcast:1 row_mask:0xf bank_mask:0xf// 0000000066D0: 0B6B6AFA FF01511B
	v_mul_f32_dpp v182, v27, v182 row_newbcast:2 row_mask:0xf bank_mask:0xf// 0000000066D8: 0B6D6CFA FF01521B
	v_mul_f32_dpp v183, v27, v183 row_newbcast:3 row_mask:0xf bank_mask:0xf// 0000000066E0: 0B6F6EFA FF01531B
	v_cvt_f32_i32_e32 v184, v184                               // 0000000066E8: 7F700BB8
	v_cvt_f32_i32_e32 v185, v185                               // 0000000066EC: 7F720BB9
	v_cvt_f32_i32_e32 v186, v186                               // 0000000066F0: 7F740BBA
	v_cvt_f32_i32_e32 v187, v187                               // 0000000066F4: 7F760BBB
	v_mul_f32_dpp v184, v27, v184 row_newbcast:0 row_mask:0xf bank_mask:0xf// 0000000066F8: 0B7170FA FF01501B
	v_mul_f32_dpp v185, v27, v185 row_newbcast:1 row_mask:0xf bank_mask:0xf// 000000006700: 0B7372FA FF01511B
	v_mul_f32_dpp v186, v27, v186 row_newbcast:2 row_mask:0xf bank_mask:0xf// 000000006708: 0B7574FA FF01521B
	v_mul_f32_dpp v187, v27, v187 row_newbcast:3 row_mask:0xf bank_mask:0xf// 000000006710: 0B7776FA FF01531B
	v_cvt_f32_i32_e32 v188, v188                               // 000000006718: 7F780BBC
	v_cvt_f32_i32_e32 v189, v189                               // 00000000671C: 7F7A0BBD
	v_cvt_f32_i32_e32 v190, v190                               // 000000006720: 7F7C0BBE
	v_cvt_f32_i32_e32 v191, v191                               // 000000006724: 7F7E0BBF
	v_mul_f32_dpp v188, v27, v188 row_newbcast:0 row_mask:0xf bank_mask:0xf// 000000006728: 0B7978FA FF01501B
	v_mul_f32_dpp v189, v27, v189 row_newbcast:1 row_mask:0xf bank_mask:0xf// 000000006730: 0B7B7AFA FF01511B
	v_mul_f32_dpp v190, v27, v190 row_newbcast:2 row_mask:0xf bank_mask:0xf// 000000006738: 0B7D7CFA FF01521B
	v_mul_f32_dpp v191, v27, v191 row_newbcast:3 row_mask:0xf bank_mask:0xf// 000000006740: 0B7F7EFA FF01531B
	v_cvt_f32_i32_e32 v192, v192                               // 000000006748: 7F800BC0
	v_cvt_f32_i32_e32 v193, v193                               // 00000000674C: 7F820BC1
	v_cvt_f32_i32_e32 v194, v194                               // 000000006750: 7F840BC2
	v_cvt_f32_i32_e32 v195, v195                               // 000000006754: 7F860BC3
	v_mul_f32_dpp v192, v27, v192 row_newbcast:0 row_mask:0xf bank_mask:0xf// 000000006758: 0B8180FA FF01501B
	v_mul_f32_dpp v193, v27, v193 row_newbcast:1 row_mask:0xf bank_mask:0xf// 000000006760: 0B8382FA FF01511B
	v_mul_f32_dpp v194, v27, v194 row_newbcast:2 row_mask:0xf bank_mask:0xf// 000000006768: 0B8584FA FF01521B
	v_mul_f32_dpp v195, v27, v195 row_newbcast:3 row_mask:0xf bank_mask:0xf// 000000006770: 0B8786FA FF01531B
	v_cvt_f32_i32_e32 v196, v196                               // 000000006778: 7F880BC4
	v_cvt_f32_i32_e32 v197, v197                               // 00000000677C: 7F8A0BC5
	v_cvt_f32_i32_e32 v198, v198                               // 000000006780: 7F8C0BC6
	v_cvt_f32_i32_e32 v199, v199                               // 000000006784: 7F8E0BC7
	v_mul_f32_dpp v196, v27, v196 row_newbcast:4 row_mask:0xf bank_mask:0xf// 000000006788: 0B8988FA FF01541B
	v_mul_f32_dpp v197, v27, v197 row_newbcast:5 row_mask:0xf bank_mask:0xf// 000000006790: 0B8B8AFA FF01551B
	v_mul_f32_dpp v198, v27, v198 row_newbcast:6 row_mask:0xf bank_mask:0xf// 000000006798: 0B8D8CFA FF01561B
	v_mul_f32_dpp v199, v27, v199 row_newbcast:7 row_mask:0xf bank_mask:0xf// 0000000067A0: 0B8F8EFA FF01571B
	v_cvt_f32_i32_e32 v200, v200                               // 0000000067A8: 7F900BC8
	v_cvt_f32_i32_e32 v201, v201                               // 0000000067AC: 7F920BC9
	v_cvt_f32_i32_e32 v202, v202                               // 0000000067B0: 7F940BCA
	v_cvt_f32_i32_e32 v203, v203                               // 0000000067B4: 7F960BCB
	v_mul_f32_dpp v200, v27, v200 row_newbcast:4 row_mask:0xf bank_mask:0xf// 0000000067B8: 0B9190FA FF01541B
	v_mul_f32_dpp v201, v27, v201 row_newbcast:5 row_mask:0xf bank_mask:0xf// 0000000067C0: 0B9392FA FF01551B
	v_mul_f32_dpp v202, v27, v202 row_newbcast:6 row_mask:0xf bank_mask:0xf// 0000000067C8: 0B9594FA FF01561B
	v_mul_f32_dpp v203, v27, v203 row_newbcast:7 row_mask:0xf bank_mask:0xf// 0000000067D0: 0B9796FA FF01571B
	v_cvt_f32_i32_e32 v204, v204                               // 0000000067D8: 7F980BCC
	v_cvt_f32_i32_e32 v205, v205                               // 0000000067DC: 7F9A0BCD
	v_cvt_f32_i32_e32 v206, v206                               // 0000000067E0: 7F9C0BCE
	v_cvt_f32_i32_e32 v207, v207                               // 0000000067E4: 7F9E0BCF
	v_mul_f32_dpp v204, v27, v204 row_newbcast:4 row_mask:0xf bank_mask:0xf// 0000000067E8: 0B9998FA FF01541B
	v_mul_f32_dpp v205, v27, v205 row_newbcast:5 row_mask:0xf bank_mask:0xf// 0000000067F0: 0B9B9AFA FF01551B
	v_mul_f32_dpp v206, v27, v206 row_newbcast:6 row_mask:0xf bank_mask:0xf// 0000000067F8: 0B9D9CFA FF01561B
	v_mul_f32_dpp v207, v27, v207 row_newbcast:7 row_mask:0xf bank_mask:0xf// 000000006800: 0B9F9EFA FF01571B
	v_cvt_f32_i32_e32 v208, v208                               // 000000006808: 7FA00BD0
	v_cvt_f32_i32_e32 v209, v209                               // 00000000680C: 7FA20BD1
	v_cvt_f32_i32_e32 v210, v210                               // 000000006810: 7FA40BD2
	v_cvt_f32_i32_e32 v211, v211                               // 000000006814: 7FA60BD3
	v_mul_f32_dpp v208, v27, v208 row_newbcast:4 row_mask:0xf bank_mask:0xf// 000000006818: 0BA1A0FA FF01541B
	v_mul_f32_dpp v209, v27, v209 row_newbcast:5 row_mask:0xf bank_mask:0xf// 000000006820: 0BA3A2FA FF01551B
	v_mul_f32_dpp v210, v27, v210 row_newbcast:6 row_mask:0xf bank_mask:0xf// 000000006828: 0BA5A4FA FF01561B
	v_mul_f32_dpp v211, v27, v211 row_newbcast:7 row_mask:0xf bank_mask:0xf// 000000006830: 0BA7A6FA FF01571B
	v_cvt_f32_i32_e32 v212, v212                               // 000000006838: 7FA80BD4
	v_cvt_f32_i32_e32 v213, v213                               // 00000000683C: 7FAA0BD5
	v_cvt_f32_i32_e32 v214, v214                               // 000000006840: 7FAC0BD6
	v_cvt_f32_i32_e32 v215, v215                               // 000000006844: 7FAE0BD7
	v_mul_f32_dpp v212, v27, v212 row_newbcast:4 row_mask:0xf bank_mask:0xf// 000000006848: 0BA9A8FA FF01541B
	v_mul_f32_dpp v213, v27, v213 row_newbcast:5 row_mask:0xf bank_mask:0xf// 000000006850: 0BABAAFA FF01551B
	v_mul_f32_dpp v214, v27, v214 row_newbcast:6 row_mask:0xf bank_mask:0xf// 000000006858: 0BADACFA FF01561B
	v_mul_f32_dpp v215, v27, v215 row_newbcast:7 row_mask:0xf bank_mask:0xf// 000000006860: 0BAFAEFA FF01571B
	v_cvt_f32_i32_e32 v216, v216                               // 000000006868: 7FB00BD8
	v_cvt_f32_i32_e32 v217, v217                               // 00000000686C: 7FB20BD9
	v_cvt_f32_i32_e32 v218, v218                               // 000000006870: 7FB40BDA
	v_cvt_f32_i32_e32 v219, v219                               // 000000006874: 7FB60BDB
	v_mul_f32_dpp v216, v27, v216 row_newbcast:4 row_mask:0xf bank_mask:0xf// 000000006878: 0BB1B0FA FF01541B
	v_mul_f32_dpp v217, v27, v217 row_newbcast:5 row_mask:0xf bank_mask:0xf// 000000006880: 0BB3B2FA FF01551B
	v_mul_f32_dpp v218, v27, v218 row_newbcast:6 row_mask:0xf bank_mask:0xf// 000000006888: 0BB5B4FA FF01561B
	v_mul_f32_dpp v219, v27, v219 row_newbcast:7 row_mask:0xf bank_mask:0xf// 000000006890: 0BB7B6FA FF01571B
	v_cvt_f32_i32_e32 v220, v220                               // 000000006898: 7FB80BDC
	v_cvt_f32_i32_e32 v221, v221                               // 00000000689C: 7FBA0BDD
	v_cvt_f32_i32_e32 v222, v222                               // 0000000068A0: 7FBC0BDE
	v_cvt_f32_i32_e32 v223, v223                               // 0000000068A4: 7FBE0BDF
	v_mul_f32_dpp v220, v27, v220 row_newbcast:4 row_mask:0xf bank_mask:0xf// 0000000068A8: 0BB9B8FA FF01541B
	v_mul_f32_dpp v221, v27, v221 row_newbcast:5 row_mask:0xf bank_mask:0xf// 0000000068B0: 0BBBBAFA FF01551B
	v_mul_f32_dpp v222, v27, v222 row_newbcast:6 row_mask:0xf bank_mask:0xf// 0000000068B8: 0BBDBCFA FF01561B
	v_mul_f32_dpp v223, v27, v223 row_newbcast:7 row_mask:0xf bank_mask:0xf// 0000000068C0: 0BBFBEFA FF01571B
	v_cvt_f32_i32_e32 v224, v224                               // 0000000068C8: 7FC00BE0
	v_cvt_f32_i32_e32 v225, v225                               // 0000000068CC: 7FC20BE1
	v_cvt_f32_i32_e32 v226, v226                               // 0000000068D0: 7FC40BE2
	v_cvt_f32_i32_e32 v227, v227                               // 0000000068D4: 7FC60BE3
	v_mul_f32_dpp v224, v27, v224 row_newbcast:4 row_mask:0xf bank_mask:0xf// 0000000068D8: 0BC1C0FA FF01541B
	v_mul_f32_dpp v225, v27, v225 row_newbcast:5 row_mask:0xf bank_mask:0xf// 0000000068E0: 0BC3C2FA FF01551B
	v_mul_f32_dpp v226, v27, v226 row_newbcast:6 row_mask:0xf bank_mask:0xf// 0000000068E8: 0BC5C4FA FF01561B
	v_mul_f32_dpp v227, v27, v227 row_newbcast:7 row_mask:0xf bank_mask:0xf// 0000000068F0: 0BC7C6FA FF01571B
	v_cvt_f32_i32_e32 v228, v228                               // 0000000068F8: 7FC80BE4
	v_cvt_f32_i32_e32 v229, v229                               // 0000000068FC: 7FCA0BE5
	v_cvt_f32_i32_e32 v230, v230                               // 000000006900: 7FCC0BE6
	v_cvt_f32_i32_e32 v231, v231                               // 000000006904: 7FCE0BE7
	v_mul_f32_dpp v228, v27, v228 row_newbcast:4 row_mask:0xf bank_mask:0xf// 000000006908: 0BC9C8FA FF01541B
	v_mul_f32_dpp v229, v27, v229 row_newbcast:5 row_mask:0xf bank_mask:0xf// 000000006910: 0BCBCAFA FF01551B
	v_mul_f32_dpp v230, v27, v230 row_newbcast:6 row_mask:0xf bank_mask:0xf// 000000006918: 0BCDCCFA FF01561B
	v_mul_f32_dpp v231, v27, v231 row_newbcast:7 row_mask:0xf bank_mask:0xf// 000000006920: 0BCFCEFA FF01571B
	v_mov_b32_e32 v4, v39                                      // 000000006928: 7E080327
	v_mov_b32_e32 v5, v4                                       // 00000000692C: 7E0A0304
	v_pk_mul_f32 v[88:89], v[4:5], v[88:89]                    // 000000006930: D3B14058 1802B104
	v_pk_mul_f32 v[160:161], v[4:5], v[160:161]                // 000000006938: D3B140A0 18034104
	v_pk_mul_f32 v[90:91], v[4:5], v[90:91]                    // 000000006940: D3B1405A 1802B504
	v_pk_mul_f32 v[162:163], v[4:5], v[162:163]                // 000000006948: D3B140A2 18034504
	v_pk_mul_f32 v[124:125], v[4:5], v[124:125]                // 000000006950: D3B1407C 1802F904
	v_pk_mul_f32 v[196:197], v[4:5], v[196:197]                // 000000006958: D3B140C4 18038904
	v_pk_mul_f32 v[126:127], v[4:5], v[126:127]                // 000000006960: D3B1407E 1802FD04
	v_pk_mul_f32 v[198:199], v[4:5], v[198:199]                // 000000006968: D3B140C6 18038D04
	v_mov_b32_e32 v4, v40                                      // 000000006970: 7E080328
	v_mov_b32_e32 v5, v4                                       // 000000006974: 7E0A0304
	v_pk_mul_f32 v[92:93], v[4:5], v[92:93]                    // 000000006978: D3B1405C 1802B904
	v_pk_mul_f32 v[164:165], v[4:5], v[164:165]                // 000000006980: D3B140A4 18034904
	v_pk_mul_f32 v[94:95], v[4:5], v[94:95]                    // 000000006988: D3B1405E 1802BD04
	v_pk_mul_f32 v[166:167], v[4:5], v[166:167]                // 000000006990: D3B140A6 18034D04
	v_pk_mul_f32 v[128:129], v[4:5], v[128:129]                // 000000006998: D3B14080 18030104
	v_pk_mul_f32 v[200:201], v[4:5], v[200:201]                // 0000000069A0: D3B140C8 18039104
	v_pk_mul_f32 v[130:131], v[4:5], v[130:131]                // 0000000069A8: D3B14082 18030504
	v_pk_mul_f32 v[202:203], v[4:5], v[202:203]                // 0000000069B0: D3B140CA 18039504
	v_mov_b32_e32 v4, v41                                      // 0000000069B8: 7E080329
	v_mov_b32_e32 v5, v4                                       // 0000000069BC: 7E0A0304
	v_pk_mul_f32 v[96:97], v[4:5], v[96:97]                    // 0000000069C0: D3B14060 1802C104
	v_pk_mul_f32 v[168:169], v[4:5], v[168:169]                // 0000000069C8: D3B140A8 18035104
	v_pk_mul_f32 v[98:99], v[4:5], v[98:99]                    // 0000000069D0: D3B14062 1802C504
	v_pk_mul_f32 v[170:171], v[4:5], v[170:171]                // 0000000069D8: D3B140AA 18035504
	v_pk_mul_f32 v[132:133], v[4:5], v[132:133]                // 0000000069E0: D3B14084 18030904
	v_pk_mul_f32 v[204:205], v[4:5], v[204:205]                // 0000000069E8: D3B140CC 18039904
	v_pk_mul_f32 v[134:135], v[4:5], v[134:135]                // 0000000069F0: D3B14086 18030D04
	v_pk_mul_f32 v[206:207], v[4:5], v[206:207]                // 0000000069F8: D3B140CE 18039D04
	v_mov_b32_e32 v4, v42                                      // 000000006A00: 7E08032A
	v_mov_b32_e32 v5, v4                                       // 000000006A04: 7E0A0304
	v_pk_mul_f32 v[100:101], v[4:5], v[100:101]                // 000000006A08: D3B14064 1802C904
	v_pk_mul_f32 v[172:173], v[4:5], v[172:173]                // 000000006A10: D3B140AC 18035904
	v_pk_mul_f32 v[102:103], v[4:5], v[102:103]                // 000000006A18: D3B14066 1802CD04
	v_pk_mul_f32 v[174:175], v[4:5], v[174:175]                // 000000006A20: D3B140AE 18035D04
	v_pk_mul_f32 v[136:137], v[4:5], v[136:137]                // 000000006A28: D3B14088 18031104
	v_pk_mul_f32 v[208:209], v[4:5], v[208:209]                // 000000006A30: D3B140D0 1803A104
	v_pk_mul_f32 v[138:139], v[4:5], v[138:139]                // 000000006A38: D3B1408A 18031504
	v_pk_mul_f32 v[210:211], v[4:5], v[210:211]                // 000000006A40: D3B140D2 1803A504
	v_mov_b32_e32 v4, v43                                      // 000000006A48: 7E08032B
	v_mov_b32_e32 v5, v4                                       // 000000006A4C: 7E0A0304
	v_pk_mul_f32 v[104:105], v[4:5], v[104:105]                // 000000006A50: D3B14068 1802D104
	v_pk_mul_f32 v[176:177], v[4:5], v[176:177]                // 000000006A58: D3B140B0 18036104
	v_pk_mul_f32 v[106:107], v[4:5], v[106:107]                // 000000006A60: D3B1406A 1802D504
	v_pk_mul_f32 v[178:179], v[4:5], v[178:179]                // 000000006A68: D3B140B2 18036504
	v_pk_mul_f32 v[140:141], v[4:5], v[140:141]                // 000000006A70: D3B1408C 18031904
	v_pk_mul_f32 v[212:213], v[4:5], v[212:213]                // 000000006A78: D3B140D4 1803A904
	v_pk_mul_f32 v[142:143], v[4:5], v[142:143]                // 000000006A80: D3B1408E 18031D04
	v_pk_mul_f32 v[214:215], v[4:5], v[214:215]                // 000000006A88: D3B140D6 1803AD04
	v_mov_b32_e32 v4, v44                                      // 000000006A90: 7E08032C
	v_mov_b32_e32 v5, v4                                       // 000000006A94: 7E0A0304
	v_pk_mul_f32 v[108:109], v[4:5], v[108:109]                // 000000006A98: D3B1406C 1802D904
	v_pk_mul_f32 v[180:181], v[4:5], v[180:181]                // 000000006AA0: D3B140B4 18036904
	v_pk_mul_f32 v[110:111], v[4:5], v[110:111]                // 000000006AA8: D3B1406E 1802DD04
	v_pk_mul_f32 v[182:183], v[4:5], v[182:183]                // 000000006AB0: D3B140B6 18036D04
	v_pk_mul_f32 v[144:145], v[4:5], v[144:145]                // 000000006AB8: D3B14090 18032104
	v_pk_mul_f32 v[216:217], v[4:5], v[216:217]                // 000000006AC0: D3B140D8 1803B104
	v_pk_mul_f32 v[146:147], v[4:5], v[146:147]                // 000000006AC8: D3B14092 18032504
	v_pk_mul_f32 v[218:219], v[4:5], v[218:219]                // 000000006AD0: D3B140DA 1803B504
	v_mov_b32_e32 v4, v45                                      // 000000006AD8: 7E08032D
	v_mov_b32_e32 v5, v4                                       // 000000006ADC: 7E0A0304
	v_pk_mul_f32 v[112:113], v[4:5], v[112:113]                // 000000006AE0: D3B14070 1802E104
	v_pk_mul_f32 v[184:185], v[4:5], v[184:185]                // 000000006AE8: D3B140B8 18037104
	v_pk_mul_f32 v[114:115], v[4:5], v[114:115]                // 000000006AF0: D3B14072 1802E504
	v_pk_mul_f32 v[186:187], v[4:5], v[186:187]                // 000000006AF8: D3B140BA 18037504
	v_pk_mul_f32 v[148:149], v[4:5], v[148:149]                // 000000006B00: D3B14094 18032904
	v_pk_mul_f32 v[220:221], v[4:5], v[220:221]                // 000000006B08: D3B140DC 1803B904
	v_pk_mul_f32 v[150:151], v[4:5], v[150:151]                // 000000006B10: D3B14096 18032D04
	v_pk_mul_f32 v[222:223], v[4:5], v[222:223]                // 000000006B18: D3B140DE 1803BD04
	v_mov_b32_e32 v4, v46                                      // 000000006B20: 7E08032E
	v_mov_b32_e32 v5, v4                                       // 000000006B24: 7E0A0304
	v_pk_mul_f32 v[116:117], v[4:5], v[116:117]                // 000000006B28: D3B14074 1802E904
	v_pk_mul_f32 v[188:189], v[4:5], v[188:189]                // 000000006B30: D3B140BC 18037904
	v_pk_mul_f32 v[118:119], v[4:5], v[118:119]                // 000000006B38: D3B14076 1802ED04
	v_pk_mul_f32 v[190:191], v[4:5], v[190:191]                // 000000006B40: D3B140BE 18037D04
	v_pk_mul_f32 v[152:153], v[4:5], v[152:153]                // 000000006B48: D3B14098 18033104
	v_pk_mul_f32 v[224:225], v[4:5], v[224:225]                // 000000006B50: D3B140E0 1803C104
	v_pk_mul_f32 v[154:155], v[4:5], v[154:155]                // 000000006B58: D3B1409A 18033504
	v_pk_mul_f32 v[226:227], v[4:5], v[226:227]                // 000000006B60: D3B140E2 1803C504
	v_mov_b32_e32 v4, v47                                      // 000000006B68: 7E08032F
	v_mov_b32_e32 v5, v4                                       // 000000006B6C: 7E0A0304
	v_pk_mul_f32 v[120:121], v[4:5], v[120:121]                // 000000006B70: D3B14078 1802F104
	v_pk_mul_f32 v[192:193], v[4:5], v[192:193]                // 000000006B78: D3B140C0 18038104
	v_pk_mul_f32 v[122:123], v[4:5], v[122:123]                // 000000006B80: D3B1407A 1802F504
	v_pk_mul_f32 v[194:195], v[4:5], v[194:195]                // 000000006B88: D3B140C2 18038504
	v_pk_mul_f32 v[156:157], v[4:5], v[156:157]                // 000000006B90: D3B1409C 18033904
	v_pk_mul_f32 v[228:229], v[4:5], v[228:229]                // 000000006B98: D3B140E4 1803C904
	v_pk_mul_f32 v[158:159], v[4:5], v[158:159]                // 000000006BA0: D3B1409E 18033D04
	v_pk_mul_f32 v[230:231], v[4:5], v[230:231]                // 000000006BA8: D3B140E6 1803CD04
	s_cmp_eq_u32 s88, 0                                        // 000000006BB0: BF068058
	s_cbranch_scc0 label_1AF7                                  // 000000006BB4: BF840A89
	s_cmp_eq_u32 s89, 0                                        // 000000006BB8: BF068059
	s_cbranch_scc1 label_1345                                  // 000000006BBC: BF8502D5
	v_mov_b32_e32 v8, v1                                       // 000000006BC0: 7E100301
	v_mov_b32_e32 v9, v1                                       // 000000006BC4: 7E120301
	s_mov_b32 s60, s6                                          // 000000006BC8: BEBC0006
	s_mov_b32 s61, s6                                          // 000000006BCC: BEBD0006
	v_pk_mul_f32 v[4:5], v[88:89], v[88:89]                    // 000000006BD0: D3B14004 1802B158
	v_pk_mul_f32 v[6:7], v[90:91], v[90:91]                    // 000000006BD8: D3B14006 1802B55A
	v_pk_fma_f32 v[4:5], v[4:5], s[78:79], v[8:9]              // 000000006BE0: D3B04004 1C209D04
	v_pk_fma_f32 v[6:7], v[6:7], s[78:79], v[8:9]              // 000000006BE8: D3B04006 1C209D06
	v_pk_mul_f32 v[4:5], v[4:5], v[88:89]                      // 000000006BF0: D3B14004 1802B104
	v_pk_mul_f32 v[6:7], v[6:7], v[90:91]                      // 000000006BF8: D3B14006 1802B506
	v_pk_mul_f32 v[4:5], v[4:5], s[60:61]                      // 000000006C00: D3B14004 18007904
	v_pk_mul_f32 v[6:7], v[6:7], s[60:61]                      // 000000006C08: D3B14006 18007906
	v_exp_f32_e32 v4, v4                                       // 000000006C10: 7E084104
	v_exp_f32_e32 v5, v5                                       // 000000006C14: 7E0A4105
	v_exp_f32_e32 v6, v6                                       // 000000006C18: 7E0C4106
	v_exp_f32_e32 v7, v7                                       // 000000006C1C: 7E0E4107
	v_add_f32_e64 v4, v4, 1.0                                  // 000000006C20: D1010004 0001E504
	v_add_f32_e64 v5, v5, 1.0                                  // 000000006C28: D1010005 0001E505
	v_add_f32_e64 v6, v6, 1.0                                  // 000000006C30: D1010006 0001E506
	v_add_f32_e64 v7, v7, 1.0                                  // 000000006C38: D1010007 0001E507
	v_rcp_f32_e32 v4, v4                                       // 000000006C40: 7E084504
	v_rcp_f32_e32 v5, v5                                       // 000000006C44: 7E0A4505
	v_rcp_f32_e32 v6, v6                                       // 000000006C48: 7E0C4506
	v_rcp_f32_e32 v7, v7                                       // 000000006C4C: 7E0E4507
	v_mul_f32_e32 v88, v88, v4                                 // 000000006C50: 0AB00958
	v_mul_f32_e32 v89, v89, v5                                 // 000000006C54: 0AB20B59
	v_mul_f32_e32 v90, v90, v6                                 // 000000006C58: 0AB40D5A
	v_mul_f32_e32 v91, v91, v7                                 // 000000006C5C: 0AB60F5B
	v_mul_f32_e32 v88, v88, v160                               // 000000006C60: 0AB14158
	v_mul_f32_e32 v89, v89, v161                               // 000000006C64: 0AB34359
	v_mul_f32_e32 v90, v90, v162                               // 000000006C68: 0AB5455A
	v_mul_f32_e32 v91, v91, v163                               // 000000006C6C: 0AB7475B
	v_pk_mul_f32 v[4:5], v[92:93], v[92:93]                    // 000000006C70: D3B14004 1802B95C
	v_pk_mul_f32 v[6:7], v[94:95], v[94:95]                    // 000000006C78: D3B14006 1802BD5E
	v_pk_fma_f32 v[4:5], v[4:5], s[78:79], v[8:9]              // 000000006C80: D3B04004 1C209D04
	v_pk_fma_f32 v[6:7], v[6:7], s[78:79], v[8:9]              // 000000006C88: D3B04006 1C209D06
	v_pk_mul_f32 v[4:5], v[4:5], v[92:93]                      // 000000006C90: D3B14004 1802B904
	v_pk_mul_f32 v[6:7], v[6:7], v[94:95]                      // 000000006C98: D3B14006 1802BD06
	v_pk_mul_f32 v[4:5], v[4:5], s[60:61]                      // 000000006CA0: D3B14004 18007904
	v_pk_mul_f32 v[6:7], v[6:7], s[60:61]                      // 000000006CA8: D3B14006 18007906
	v_exp_f32_e32 v4, v4                                       // 000000006CB0: 7E084104
	v_exp_f32_e32 v5, v5                                       // 000000006CB4: 7E0A4105
	v_exp_f32_e32 v6, v6                                       // 000000006CB8: 7E0C4106
	v_exp_f32_e32 v7, v7                                       // 000000006CBC: 7E0E4107
	v_add_f32_e64 v4, v4, 1.0                                  // 000000006CC0: D1010004 0001E504
	v_add_f32_e64 v5, v5, 1.0                                  // 000000006CC8: D1010005 0001E505
	v_add_f32_e64 v6, v6, 1.0                                  // 000000006CD0: D1010006 0001E506
	v_add_f32_e64 v7, v7, 1.0                                  // 000000006CD8: D1010007 0001E507
	v_rcp_f32_e32 v4, v4                                       // 000000006CE0: 7E084504
	v_rcp_f32_e32 v5, v5                                       // 000000006CE4: 7E0A4505
	v_rcp_f32_e32 v6, v6                                       // 000000006CE8: 7E0C4506
	v_rcp_f32_e32 v7, v7                                       // 000000006CEC: 7E0E4507
	v_mul_f32_e32 v92, v92, v4                                 // 000000006CF0: 0AB8095C
	v_mul_f32_e32 v93, v93, v5                                 // 000000006CF4: 0ABA0B5D
	v_mul_f32_e32 v94, v94, v6                                 // 000000006CF8: 0ABC0D5E
	v_mul_f32_e32 v95, v95, v7                                 // 000000006CFC: 0ABE0F5F
	v_mul_f32_e32 v92, v92, v164                               // 000000006D00: 0AB9495C
	v_mul_f32_e32 v93, v93, v165                               // 000000006D04: 0ABB4B5D
	v_mul_f32_e32 v94, v94, v166                               // 000000006D08: 0ABD4D5E
	v_mul_f32_e32 v95, v95, v167                               // 000000006D0C: 0ABF4F5F
	v_pk_mul_f32 v[4:5], v[96:97], v[96:97]                    // 000000006D10: D3B14004 1802C160
	v_pk_mul_f32 v[6:7], v[98:99], v[98:99]                    // 000000006D18: D3B14006 1802C562
	v_pk_fma_f32 v[4:5], v[4:5], s[78:79], v[8:9]              // 000000006D20: D3B04004 1C209D04
	v_pk_fma_f32 v[6:7], v[6:7], s[78:79], v[8:9]              // 000000006D28: D3B04006 1C209D06
	v_pk_mul_f32 v[4:5], v[4:5], v[96:97]                      // 000000006D30: D3B14004 1802C104
	v_pk_mul_f32 v[6:7], v[6:7], v[98:99]                      // 000000006D38: D3B14006 1802C506
	v_pk_mul_f32 v[4:5], v[4:5], s[60:61]                      // 000000006D40: D3B14004 18007904
	v_pk_mul_f32 v[6:7], v[6:7], s[60:61]                      // 000000006D48: D3B14006 18007906
	v_exp_f32_e32 v4, v4                                       // 000000006D50: 7E084104
	v_exp_f32_e32 v5, v5                                       // 000000006D54: 7E0A4105
	v_exp_f32_e32 v6, v6                                       // 000000006D58: 7E0C4106
	v_exp_f32_e32 v7, v7                                       // 000000006D5C: 7E0E4107
	v_add_f32_e64 v4, v4, 1.0                                  // 000000006D60: D1010004 0001E504
	v_add_f32_e64 v5, v5, 1.0                                  // 000000006D68: D1010005 0001E505
	v_add_f32_e64 v6, v6, 1.0                                  // 000000006D70: D1010006 0001E506
	v_add_f32_e64 v7, v7, 1.0                                  // 000000006D78: D1010007 0001E507
	v_rcp_f32_e32 v4, v4                                       // 000000006D80: 7E084504
	v_rcp_f32_e32 v5, v5                                       // 000000006D84: 7E0A4505
	v_rcp_f32_e32 v6, v6                                       // 000000006D88: 7E0C4506
	v_rcp_f32_e32 v7, v7                                       // 000000006D8C: 7E0E4507
	v_mul_f32_e32 v96, v96, v4                                 // 000000006D90: 0AC00960
	v_mul_f32_e32 v97, v97, v5                                 // 000000006D94: 0AC20B61
	v_mul_f32_e32 v98, v98, v6                                 // 000000006D98: 0AC40D62
	v_mul_f32_e32 v99, v99, v7                                 // 000000006D9C: 0AC60F63
	v_mul_f32_e32 v96, v96, v168                               // 000000006DA0: 0AC15160
	v_mul_f32_e32 v97, v97, v169                               // 000000006DA4: 0AC35361
	v_mul_f32_e32 v98, v98, v170                               // 000000006DA8: 0AC55562
	v_mul_f32_e32 v99, v99, v171                               // 000000006DAC: 0AC75763
	v_pk_mul_f32 v[4:5], v[100:101], v[100:101]                // 000000006DB0: D3B14004 1802C964
	v_pk_mul_f32 v[6:7], v[102:103], v[102:103]                // 000000006DB8: D3B14006 1802CD66
	v_pk_fma_f32 v[4:5], v[4:5], s[78:79], v[8:9]              // 000000006DC0: D3B04004 1C209D04
	v_pk_fma_f32 v[6:7], v[6:7], s[78:79], v[8:9]              // 000000006DC8: D3B04006 1C209D06
	v_pk_mul_f32 v[4:5], v[4:5], v[100:101]                    // 000000006DD0: D3B14004 1802C904
	v_pk_mul_f32 v[6:7], v[6:7], v[102:103]                    // 000000006DD8: D3B14006 1802CD06
	v_pk_mul_f32 v[4:5], v[4:5], s[60:61]                      // 000000006DE0: D3B14004 18007904
	v_pk_mul_f32 v[6:7], v[6:7], s[60:61]                      // 000000006DE8: D3B14006 18007906
	v_exp_f32_e32 v4, v4                                       // 000000006DF0: 7E084104
	v_exp_f32_e32 v5, v5                                       // 000000006DF4: 7E0A4105
	v_exp_f32_e32 v6, v6                                       // 000000006DF8: 7E0C4106
	v_exp_f32_e32 v7, v7                                       // 000000006DFC: 7E0E4107
	v_add_f32_e64 v4, v4, 1.0                                  // 000000006E00: D1010004 0001E504
	v_add_f32_e64 v5, v5, 1.0                                  // 000000006E08: D1010005 0001E505
	v_add_f32_e64 v6, v6, 1.0                                  // 000000006E10: D1010006 0001E506
	v_add_f32_e64 v7, v7, 1.0                                  // 000000006E18: D1010007 0001E507
	v_rcp_f32_e32 v4, v4                                       // 000000006E20: 7E084504
	v_rcp_f32_e32 v5, v5                                       // 000000006E24: 7E0A4505
	v_rcp_f32_e32 v6, v6                                       // 000000006E28: 7E0C4506
	v_rcp_f32_e32 v7, v7                                       // 000000006E2C: 7E0E4507
	v_mul_f32_e32 v100, v100, v4                               // 000000006E30: 0AC80964
	v_mul_f32_e32 v101, v101, v5                               // 000000006E34: 0ACA0B65
	v_mul_f32_e32 v102, v102, v6                               // 000000006E38: 0ACC0D66
	v_mul_f32_e32 v103, v103, v7                               // 000000006E3C: 0ACE0F67
	v_mul_f32_e32 v100, v100, v172                             // 000000006E40: 0AC95964
	v_mul_f32_e32 v101, v101, v173                             // 000000006E44: 0ACB5B65
	v_mul_f32_e32 v102, v102, v174                             // 000000006E48: 0ACD5D66
	v_mul_f32_e32 v103, v103, v175                             // 000000006E4C: 0ACF5F67
	v_pk_mul_f32 v[4:5], v[104:105], v[104:105]                // 000000006E50: D3B14004 1802D168
	v_pk_mul_f32 v[6:7], v[106:107], v[106:107]                // 000000006E58: D3B14006 1802D56A
	v_pk_fma_f32 v[4:5], v[4:5], s[78:79], v[8:9]              // 000000006E60: D3B04004 1C209D04
	v_pk_fma_f32 v[6:7], v[6:7], s[78:79], v[8:9]              // 000000006E68: D3B04006 1C209D06
	v_pk_mul_f32 v[4:5], v[4:5], v[104:105]                    // 000000006E70: D3B14004 1802D104
	v_pk_mul_f32 v[6:7], v[6:7], v[106:107]                    // 000000006E78: D3B14006 1802D506
	v_pk_mul_f32 v[4:5], v[4:5], s[60:61]                      // 000000006E80: D3B14004 18007904
	v_pk_mul_f32 v[6:7], v[6:7], s[60:61]                      // 000000006E88: D3B14006 18007906
	v_exp_f32_e32 v4, v4                                       // 000000006E90: 7E084104
	v_exp_f32_e32 v5, v5                                       // 000000006E94: 7E0A4105
	v_exp_f32_e32 v6, v6                                       // 000000006E98: 7E0C4106
	v_exp_f32_e32 v7, v7                                       // 000000006E9C: 7E0E4107
	v_add_f32_e64 v4, v4, 1.0                                  // 000000006EA0: D1010004 0001E504
	v_add_f32_e64 v5, v5, 1.0                                  // 000000006EA8: D1010005 0001E505
	v_add_f32_e64 v6, v6, 1.0                                  // 000000006EB0: D1010006 0001E506
	v_add_f32_e64 v7, v7, 1.0                                  // 000000006EB8: D1010007 0001E507
	v_rcp_f32_e32 v4, v4                                       // 000000006EC0: 7E084504
	v_rcp_f32_e32 v5, v5                                       // 000000006EC4: 7E0A4505
	v_rcp_f32_e32 v6, v6                                       // 000000006EC8: 7E0C4506
	v_rcp_f32_e32 v7, v7                                       // 000000006ECC: 7E0E4507
	v_mul_f32_e32 v104, v104, v4                               // 000000006ED0: 0AD00968
	v_mul_f32_e32 v105, v105, v5                               // 000000006ED4: 0AD20B69
	v_mul_f32_e32 v106, v106, v6                               // 000000006ED8: 0AD40D6A
	v_mul_f32_e32 v107, v107, v7                               // 000000006EDC: 0AD60F6B
	v_mul_f32_e32 v104, v104, v176                             // 000000006EE0: 0AD16168
	v_mul_f32_e32 v105, v105, v177                             // 000000006EE4: 0AD36369
	v_mul_f32_e32 v106, v106, v178                             // 000000006EE8: 0AD5656A
	v_mul_f32_e32 v107, v107, v179                             // 000000006EEC: 0AD7676B
	v_pk_mul_f32 v[4:5], v[108:109], v[108:109]                // 000000006EF0: D3B14004 1802D96C
	v_pk_mul_f32 v[6:7], v[110:111], v[110:111]                // 000000006EF8: D3B14006 1802DD6E
	v_pk_fma_f32 v[4:5], v[4:5], s[78:79], v[8:9]              // 000000006F00: D3B04004 1C209D04
	v_pk_fma_f32 v[6:7], v[6:7], s[78:79], v[8:9]              // 000000006F08: D3B04006 1C209D06
	v_pk_mul_f32 v[4:5], v[4:5], v[108:109]                    // 000000006F10: D3B14004 1802D904
	v_pk_mul_f32 v[6:7], v[6:7], v[110:111]                    // 000000006F18: D3B14006 1802DD06
	v_pk_mul_f32 v[4:5], v[4:5], s[60:61]                      // 000000006F20: D3B14004 18007904
	v_pk_mul_f32 v[6:7], v[6:7], s[60:61]                      // 000000006F28: D3B14006 18007906
	v_exp_f32_e32 v4, v4                                       // 000000006F30: 7E084104
	v_exp_f32_e32 v5, v5                                       // 000000006F34: 7E0A4105
	v_exp_f32_e32 v6, v6                                       // 000000006F38: 7E0C4106
	v_exp_f32_e32 v7, v7                                       // 000000006F3C: 7E0E4107
	v_add_f32_e64 v4, v4, 1.0                                  // 000000006F40: D1010004 0001E504
	v_add_f32_e64 v5, v5, 1.0                                  // 000000006F48: D1010005 0001E505
	v_add_f32_e64 v6, v6, 1.0                                  // 000000006F50: D1010006 0001E506
	v_add_f32_e64 v7, v7, 1.0                                  // 000000006F58: D1010007 0001E507
	v_rcp_f32_e32 v4, v4                                       // 000000006F60: 7E084504
	v_rcp_f32_e32 v5, v5                                       // 000000006F64: 7E0A4505
	v_rcp_f32_e32 v6, v6                                       // 000000006F68: 7E0C4506
	v_rcp_f32_e32 v7, v7                                       // 000000006F6C: 7E0E4507
	v_mul_f32_e32 v108, v108, v4                               // 000000006F70: 0AD8096C
	v_mul_f32_e32 v109, v109, v5                               // 000000006F74: 0ADA0B6D
	v_mul_f32_e32 v110, v110, v6                               // 000000006F78: 0ADC0D6E
	v_mul_f32_e32 v111, v111, v7                               // 000000006F7C: 0ADE0F6F
	v_mul_f32_e32 v108, v108, v180                             // 000000006F80: 0AD9696C
	v_mul_f32_e32 v109, v109, v181                             // 000000006F84: 0ADB6B6D
	v_mul_f32_e32 v110, v110, v182                             // 000000006F88: 0ADD6D6E
	v_mul_f32_e32 v111, v111, v183                             // 000000006F8C: 0ADF6F6F
	v_pk_mul_f32 v[4:5], v[112:113], v[112:113]                // 000000006F90: D3B14004 1802E170
	v_pk_mul_f32 v[6:7], v[114:115], v[114:115]                // 000000006F98: D3B14006 1802E572
	v_pk_fma_f32 v[4:5], v[4:5], s[78:79], v[8:9]              // 000000006FA0: D3B04004 1C209D04
	v_pk_fma_f32 v[6:7], v[6:7], s[78:79], v[8:9]              // 000000006FA8: D3B04006 1C209D06
	v_pk_mul_f32 v[4:5], v[4:5], v[112:113]                    // 000000006FB0: D3B14004 1802E104
	v_pk_mul_f32 v[6:7], v[6:7], v[114:115]                    // 000000006FB8: D3B14006 1802E506
	v_pk_mul_f32 v[4:5], v[4:5], s[60:61]                      // 000000006FC0: D3B14004 18007904
	v_pk_mul_f32 v[6:7], v[6:7], s[60:61]                      // 000000006FC8: D3B14006 18007906
	v_exp_f32_e32 v4, v4                                       // 000000006FD0: 7E084104
	v_exp_f32_e32 v5, v5                                       // 000000006FD4: 7E0A4105
	v_exp_f32_e32 v6, v6                                       // 000000006FD8: 7E0C4106
	v_exp_f32_e32 v7, v7                                       // 000000006FDC: 7E0E4107
	v_add_f32_e64 v4, v4, 1.0                                  // 000000006FE0: D1010004 0001E504
	v_add_f32_e64 v5, v5, 1.0                                  // 000000006FE8: D1010005 0001E505
	v_add_f32_e64 v6, v6, 1.0                                  // 000000006FF0: D1010006 0001E506
	v_add_f32_e64 v7, v7, 1.0                                  // 000000006FF8: D1010007 0001E507
	v_rcp_f32_e32 v4, v4                                       // 000000007000: 7E084504
	v_rcp_f32_e32 v5, v5                                       // 000000007004: 7E0A4505
	v_rcp_f32_e32 v6, v6                                       // 000000007008: 7E0C4506
	v_rcp_f32_e32 v7, v7                                       // 00000000700C: 7E0E4507
	v_mul_f32_e32 v112, v112, v4                               // 000000007010: 0AE00970
	v_mul_f32_e32 v113, v113, v5                               // 000000007014: 0AE20B71
	v_mul_f32_e32 v114, v114, v6                               // 000000007018: 0AE40D72
	v_mul_f32_e32 v115, v115, v7                               // 00000000701C: 0AE60F73
	v_mul_f32_e32 v112, v112, v184                             // 000000007020: 0AE17170
	v_mul_f32_e32 v113, v113, v185                             // 000000007024: 0AE37371
	v_mul_f32_e32 v114, v114, v186                             // 000000007028: 0AE57572
	v_mul_f32_e32 v115, v115, v187                             // 00000000702C: 0AE77773
	v_pk_mul_f32 v[4:5], v[116:117], v[116:117]                // 000000007030: D3B14004 1802E974
	v_pk_mul_f32 v[6:7], v[118:119], v[118:119]                // 000000007038: D3B14006 1802ED76
	v_pk_fma_f32 v[4:5], v[4:5], s[78:79], v[8:9]              // 000000007040: D3B04004 1C209D04
	v_pk_fma_f32 v[6:7], v[6:7], s[78:79], v[8:9]              // 000000007048: D3B04006 1C209D06
	v_pk_mul_f32 v[4:5], v[4:5], v[116:117]                    // 000000007050: D3B14004 1802E904
	v_pk_mul_f32 v[6:7], v[6:7], v[118:119]                    // 000000007058: D3B14006 1802ED06
	v_pk_mul_f32 v[4:5], v[4:5], s[60:61]                      // 000000007060: D3B14004 18007904
	v_pk_mul_f32 v[6:7], v[6:7], s[60:61]                      // 000000007068: D3B14006 18007906
	v_exp_f32_e32 v4, v4                                       // 000000007070: 7E084104
	v_exp_f32_e32 v5, v5                                       // 000000007074: 7E0A4105
	v_exp_f32_e32 v6, v6                                       // 000000007078: 7E0C4106
	v_exp_f32_e32 v7, v7                                       // 00000000707C: 7E0E4107
	v_add_f32_e64 v4, v4, 1.0                                  // 000000007080: D1010004 0001E504
	v_add_f32_e64 v5, v5, 1.0                                  // 000000007088: D1010005 0001E505
	v_add_f32_e64 v6, v6, 1.0                                  // 000000007090: D1010006 0001E506
	v_add_f32_e64 v7, v7, 1.0                                  // 000000007098: D1010007 0001E507
	v_rcp_f32_e32 v4, v4                                       // 0000000070A0: 7E084504
	v_rcp_f32_e32 v5, v5                                       // 0000000070A4: 7E0A4505
	v_rcp_f32_e32 v6, v6                                       // 0000000070A8: 7E0C4506
	v_rcp_f32_e32 v7, v7                                       // 0000000070AC: 7E0E4507
	v_mul_f32_e32 v116, v116, v4                               // 0000000070B0: 0AE80974
	v_mul_f32_e32 v117, v117, v5                               // 0000000070B4: 0AEA0B75
	v_mul_f32_e32 v118, v118, v6                               // 0000000070B8: 0AEC0D76
	v_mul_f32_e32 v119, v119, v7                               // 0000000070BC: 0AEE0F77
	v_mul_f32_e32 v116, v116, v188                             // 0000000070C0: 0AE97974
	v_mul_f32_e32 v117, v117, v189                             // 0000000070C4: 0AEB7B75
	v_mul_f32_e32 v118, v118, v190                             // 0000000070C8: 0AED7D76
	v_mul_f32_e32 v119, v119, v191                             // 0000000070CC: 0AEF7F77
	v_pk_mul_f32 v[4:5], v[120:121], v[120:121]                // 0000000070D0: D3B14004 1802F178
	v_pk_mul_f32 v[6:7], v[122:123], v[122:123]                // 0000000070D8: D3B14006 1802F57A
	v_pk_fma_f32 v[4:5], v[4:5], s[78:79], v[8:9]              // 0000000070E0: D3B04004 1C209D04
	v_pk_fma_f32 v[6:7], v[6:7], s[78:79], v[8:9]              // 0000000070E8: D3B04006 1C209D06
	v_pk_mul_f32 v[4:5], v[4:5], v[120:121]                    // 0000000070F0: D3B14004 1802F104
	v_pk_mul_f32 v[6:7], v[6:7], v[122:123]                    // 0000000070F8: D3B14006 1802F506
	v_pk_mul_f32 v[4:5], v[4:5], s[60:61]                      // 000000007100: D3B14004 18007904
	v_pk_mul_f32 v[6:7], v[6:7], s[60:61]                      // 000000007108: D3B14006 18007906
	v_exp_f32_e32 v4, v4                                       // 000000007110: 7E084104
	v_exp_f32_e32 v5, v5                                       // 000000007114: 7E0A4105
	v_exp_f32_e32 v6, v6                                       // 000000007118: 7E0C4106
	v_exp_f32_e32 v7, v7                                       // 00000000711C: 7E0E4107
	v_add_f32_e64 v4, v4, 1.0                                  // 000000007120: D1010004 0001E504
	v_add_f32_e64 v5, v5, 1.0                                  // 000000007128: D1010005 0001E505
	v_add_f32_e64 v6, v6, 1.0                                  // 000000007130: D1010006 0001E506
	v_add_f32_e64 v7, v7, 1.0                                  // 000000007138: D1010007 0001E507
	v_rcp_f32_e32 v4, v4                                       // 000000007140: 7E084504
	v_rcp_f32_e32 v5, v5                                       // 000000007144: 7E0A4505
	v_rcp_f32_e32 v6, v6                                       // 000000007148: 7E0C4506
	v_rcp_f32_e32 v7, v7                                       // 00000000714C: 7E0E4507
	v_mul_f32_e32 v120, v120, v4                               // 000000007150: 0AF00978
	v_mul_f32_e32 v121, v121, v5                               // 000000007154: 0AF20B79
	v_mul_f32_e32 v122, v122, v6                               // 000000007158: 0AF40D7A
	v_mul_f32_e32 v123, v123, v7                               // 00000000715C: 0AF60F7B
	v_mul_f32_e32 v120, v120, v192                             // 000000007160: 0AF18178
	v_mul_f32_e32 v121, v121, v193                             // 000000007164: 0AF38379
	v_mul_f32_e32 v122, v122, v194                             // 000000007168: 0AF5857A
	v_mul_f32_e32 v123, v123, v195                             // 00000000716C: 0AF7877B
	v_pk_mul_f32 v[4:5], v[124:125], v[124:125]                // 000000007170: D3B14004 1802F97C
	v_pk_mul_f32 v[6:7], v[126:127], v[126:127]                // 000000007178: D3B14006 1802FD7E
	v_pk_fma_f32 v[4:5], v[4:5], s[78:79], v[8:9]              // 000000007180: D3B04004 1C209D04
	v_pk_fma_f32 v[6:7], v[6:7], s[78:79], v[8:9]              // 000000007188: D3B04006 1C209D06
	v_pk_mul_f32 v[4:5], v[4:5], v[124:125]                    // 000000007190: D3B14004 1802F904
	v_pk_mul_f32 v[6:7], v[6:7], v[126:127]                    // 000000007198: D3B14006 1802FD06
	v_pk_mul_f32 v[4:5], v[4:5], s[60:61]                      // 0000000071A0: D3B14004 18007904
	v_pk_mul_f32 v[6:7], v[6:7], s[60:61]                      // 0000000071A8: D3B14006 18007906
	v_exp_f32_e32 v4, v4                                       // 0000000071B0: 7E084104
	v_exp_f32_e32 v5, v5                                       // 0000000071B4: 7E0A4105
	v_exp_f32_e32 v6, v6                                       // 0000000071B8: 7E0C4106
	v_exp_f32_e32 v7, v7                                       // 0000000071BC: 7E0E4107
	v_add_f32_e64 v4, v4, 1.0                                  // 0000000071C0: D1010004 0001E504
	v_add_f32_e64 v5, v5, 1.0                                  // 0000000071C8: D1010005 0001E505
	v_add_f32_e64 v6, v6, 1.0                                  // 0000000071D0: D1010006 0001E506
	v_add_f32_e64 v7, v7, 1.0                                  // 0000000071D8: D1010007 0001E507
	v_rcp_f32_e32 v4, v4                                       // 0000000071E0: 7E084504
	v_rcp_f32_e32 v5, v5                                       // 0000000071E4: 7E0A4505
	v_rcp_f32_e32 v6, v6                                       // 0000000071E8: 7E0C4506
	v_rcp_f32_e32 v7, v7                                       // 0000000071EC: 7E0E4507
	v_mul_f32_e32 v124, v124, v4                               // 0000000071F0: 0AF8097C
	v_mul_f32_e32 v125, v125, v5                               // 0000000071F4: 0AFA0B7D
	v_mul_f32_e32 v126, v126, v6                               // 0000000071F8: 0AFC0D7E
	v_mul_f32_e32 v127, v127, v7                               // 0000000071FC: 0AFE0F7F
	v_mul_f32_e32 v124, v124, v196                             // 000000007200: 0AF9897C
	v_mul_f32_e32 v125, v125, v197                             // 000000007204: 0AFB8B7D
	v_mul_f32_e32 v126, v126, v198                             // 000000007208: 0AFD8D7E
	v_mul_f32_e32 v127, v127, v199                             // 00000000720C: 0AFF8F7F
	v_pk_mul_f32 v[4:5], v[128:129], v[128:129]                // 000000007210: D3B14004 18030180
	v_pk_mul_f32 v[6:7], v[130:131], v[130:131]                // 000000007218: D3B14006 18030582
	v_pk_fma_f32 v[4:5], v[4:5], s[78:79], v[8:9]              // 000000007220: D3B04004 1C209D04
	v_pk_fma_f32 v[6:7], v[6:7], s[78:79], v[8:9]              // 000000007228: D3B04006 1C209D06
	v_pk_mul_f32 v[4:5], v[4:5], v[128:129]                    // 000000007230: D3B14004 18030104
	v_pk_mul_f32 v[6:7], v[6:7], v[130:131]                    // 000000007238: D3B14006 18030506
	v_pk_mul_f32 v[4:5], v[4:5], s[60:61]                      // 000000007240: D3B14004 18007904
	v_pk_mul_f32 v[6:7], v[6:7], s[60:61]                      // 000000007248: D3B14006 18007906
	v_exp_f32_e32 v4, v4                                       // 000000007250: 7E084104
	v_exp_f32_e32 v5, v5                                       // 000000007254: 7E0A4105
	v_exp_f32_e32 v6, v6                                       // 000000007258: 7E0C4106
	v_exp_f32_e32 v7, v7                                       // 00000000725C: 7E0E4107
	v_add_f32_e64 v4, v4, 1.0                                  // 000000007260: D1010004 0001E504
	v_add_f32_e64 v5, v5, 1.0                                  // 000000007268: D1010005 0001E505
	v_add_f32_e64 v6, v6, 1.0                                  // 000000007270: D1010006 0001E506
	v_add_f32_e64 v7, v7, 1.0                                  // 000000007278: D1010007 0001E507
	v_rcp_f32_e32 v4, v4                                       // 000000007280: 7E084504
	v_rcp_f32_e32 v5, v5                                       // 000000007284: 7E0A4505
	v_rcp_f32_e32 v6, v6                                       // 000000007288: 7E0C4506
	v_rcp_f32_e32 v7, v7                                       // 00000000728C: 7E0E4507
	v_mul_f32_e32 v128, v128, v4                               // 000000007290: 0B000980
	v_mul_f32_e32 v129, v129, v5                               // 000000007294: 0B020B81
	v_mul_f32_e32 v130, v130, v6                               // 000000007298: 0B040D82
	v_mul_f32_e32 v131, v131, v7                               // 00000000729C: 0B060F83
	v_mul_f32_e32 v128, v128, v200                             // 0000000072A0: 0B019180
	v_mul_f32_e32 v129, v129, v201                             // 0000000072A4: 0B039381
	v_mul_f32_e32 v130, v130, v202                             // 0000000072A8: 0B059582
	v_mul_f32_e32 v131, v131, v203                             // 0000000072AC: 0B079783
	v_pk_mul_f32 v[4:5], v[132:133], v[132:133]                // 0000000072B0: D3B14004 18030984
	v_pk_mul_f32 v[6:7], v[134:135], v[134:135]                // 0000000072B8: D3B14006 18030D86
	v_pk_fma_f32 v[4:5], v[4:5], s[78:79], v[8:9]              // 0000000072C0: D3B04004 1C209D04
	v_pk_fma_f32 v[6:7], v[6:7], s[78:79], v[8:9]              // 0000000072C8: D3B04006 1C209D06
	v_pk_mul_f32 v[4:5], v[4:5], v[132:133]                    // 0000000072D0: D3B14004 18030904
	v_pk_mul_f32 v[6:7], v[6:7], v[134:135]                    // 0000000072D8: D3B14006 18030D06
	v_pk_mul_f32 v[4:5], v[4:5], s[60:61]                      // 0000000072E0: D3B14004 18007904
	v_pk_mul_f32 v[6:7], v[6:7], s[60:61]                      // 0000000072E8: D3B14006 18007906
	v_exp_f32_e32 v4, v4                                       // 0000000072F0: 7E084104
	v_exp_f32_e32 v5, v5                                       // 0000000072F4: 7E0A4105
	v_exp_f32_e32 v6, v6                                       // 0000000072F8: 7E0C4106
	v_exp_f32_e32 v7, v7                                       // 0000000072FC: 7E0E4107
	v_add_f32_e64 v4, v4, 1.0                                  // 000000007300: D1010004 0001E504
	v_add_f32_e64 v5, v5, 1.0                                  // 000000007308: D1010005 0001E505
	v_add_f32_e64 v6, v6, 1.0                                  // 000000007310: D1010006 0001E506
	v_add_f32_e64 v7, v7, 1.0                                  // 000000007318: D1010007 0001E507
	v_rcp_f32_e32 v4, v4                                       // 000000007320: 7E084504
	v_rcp_f32_e32 v5, v5                                       // 000000007324: 7E0A4505
	v_rcp_f32_e32 v6, v6                                       // 000000007328: 7E0C4506
	v_rcp_f32_e32 v7, v7                                       // 00000000732C: 7E0E4507
	v_mul_f32_e32 v132, v132, v4                               // 000000007330: 0B080984
	v_mul_f32_e32 v133, v133, v5                               // 000000007334: 0B0A0B85
	v_mul_f32_e32 v134, v134, v6                               // 000000007338: 0B0C0D86
	v_mul_f32_e32 v135, v135, v7                               // 00000000733C: 0B0E0F87
	v_mul_f32_e32 v132, v132, v204                             // 000000007340: 0B099984
	v_mul_f32_e32 v133, v133, v205                             // 000000007344: 0B0B9B85
	v_mul_f32_e32 v134, v134, v206                             // 000000007348: 0B0D9D86
	v_mul_f32_e32 v135, v135, v207                             // 00000000734C: 0B0F9F87
	v_pk_mul_f32 v[4:5], v[136:137], v[136:137]                // 000000007350: D3B14004 18031188
	v_pk_mul_f32 v[6:7], v[138:139], v[138:139]                // 000000007358: D3B14006 1803158A
	v_pk_fma_f32 v[4:5], v[4:5], s[78:79], v[8:9]              // 000000007360: D3B04004 1C209D04
	v_pk_fma_f32 v[6:7], v[6:7], s[78:79], v[8:9]              // 000000007368: D3B04006 1C209D06
	v_pk_mul_f32 v[4:5], v[4:5], v[136:137]                    // 000000007370: D3B14004 18031104
	v_pk_mul_f32 v[6:7], v[6:7], v[138:139]                    // 000000007378: D3B14006 18031506
	v_pk_mul_f32 v[4:5], v[4:5], s[60:61]                      // 000000007380: D3B14004 18007904
	v_pk_mul_f32 v[6:7], v[6:7], s[60:61]                      // 000000007388: D3B14006 18007906
	v_exp_f32_e32 v4, v4                                       // 000000007390: 7E084104
	v_exp_f32_e32 v5, v5                                       // 000000007394: 7E0A4105
	v_exp_f32_e32 v6, v6                                       // 000000007398: 7E0C4106
	v_exp_f32_e32 v7, v7                                       // 00000000739C: 7E0E4107
	v_add_f32_e64 v4, v4, 1.0                                  // 0000000073A0: D1010004 0001E504
	v_add_f32_e64 v5, v5, 1.0                                  // 0000000073A8: D1010005 0001E505
	v_add_f32_e64 v6, v6, 1.0                                  // 0000000073B0: D1010006 0001E506
	v_add_f32_e64 v7, v7, 1.0                                  // 0000000073B8: D1010007 0001E507
	v_rcp_f32_e32 v4, v4                                       // 0000000073C0: 7E084504
	v_rcp_f32_e32 v5, v5                                       // 0000000073C4: 7E0A4505
	v_rcp_f32_e32 v6, v6                                       // 0000000073C8: 7E0C4506
	v_rcp_f32_e32 v7, v7                                       // 0000000073CC: 7E0E4507
	v_mul_f32_e32 v136, v136, v4                               // 0000000073D0: 0B100988
	v_mul_f32_e32 v137, v137, v5                               // 0000000073D4: 0B120B89
	v_mul_f32_e32 v138, v138, v6                               // 0000000073D8: 0B140D8A
	v_mul_f32_e32 v139, v139, v7                               // 0000000073DC: 0B160F8B
	v_mul_f32_e32 v136, v136, v208                             // 0000000073E0: 0B11A188
	v_mul_f32_e32 v137, v137, v209                             // 0000000073E4: 0B13A389
	v_mul_f32_e32 v138, v138, v210                             // 0000000073E8: 0B15A58A
	v_mul_f32_e32 v139, v139, v211                             // 0000000073EC: 0B17A78B
	v_pk_mul_f32 v[4:5], v[140:141], v[140:141]                // 0000000073F0: D3B14004 1803198C
	v_pk_mul_f32 v[6:7], v[142:143], v[142:143]                // 0000000073F8: D3B14006 18031D8E
	v_pk_fma_f32 v[4:5], v[4:5], s[78:79], v[8:9]              // 000000007400: D3B04004 1C209D04
	v_pk_fma_f32 v[6:7], v[6:7], s[78:79], v[8:9]              // 000000007408: D3B04006 1C209D06
	v_pk_mul_f32 v[4:5], v[4:5], v[140:141]                    // 000000007410: D3B14004 18031904
	v_pk_mul_f32 v[6:7], v[6:7], v[142:143]                    // 000000007418: D3B14006 18031D06
	v_pk_mul_f32 v[4:5], v[4:5], s[60:61]                      // 000000007420: D3B14004 18007904
	v_pk_mul_f32 v[6:7], v[6:7], s[60:61]                      // 000000007428: D3B14006 18007906
	v_exp_f32_e32 v4, v4                                       // 000000007430: 7E084104
	v_exp_f32_e32 v5, v5                                       // 000000007434: 7E0A4105
	v_exp_f32_e32 v6, v6                                       // 000000007438: 7E0C4106
	v_exp_f32_e32 v7, v7                                       // 00000000743C: 7E0E4107
	v_add_f32_e64 v4, v4, 1.0                                  // 000000007440: D1010004 0001E504
	v_add_f32_e64 v5, v5, 1.0                                  // 000000007448: D1010005 0001E505
	v_add_f32_e64 v6, v6, 1.0                                  // 000000007450: D1010006 0001E506
	v_add_f32_e64 v7, v7, 1.0                                  // 000000007458: D1010007 0001E507
	v_rcp_f32_e32 v4, v4                                       // 000000007460: 7E084504
	v_rcp_f32_e32 v5, v5                                       // 000000007464: 7E0A4505
	v_rcp_f32_e32 v6, v6                                       // 000000007468: 7E0C4506
	v_rcp_f32_e32 v7, v7                                       // 00000000746C: 7E0E4507
	v_mul_f32_e32 v140, v140, v4                               // 000000007470: 0B18098C
	v_mul_f32_e32 v141, v141, v5                               // 000000007474: 0B1A0B8D
	v_mul_f32_e32 v142, v142, v6                               // 000000007478: 0B1C0D8E
	v_mul_f32_e32 v143, v143, v7                               // 00000000747C: 0B1E0F8F
	v_mul_f32_e32 v140, v140, v212                             // 000000007480: 0B19A98C
	v_mul_f32_e32 v141, v141, v213                             // 000000007484: 0B1BAB8D
	v_mul_f32_e32 v142, v142, v214                             // 000000007488: 0B1DAD8E
	v_mul_f32_e32 v143, v143, v215                             // 00000000748C: 0B1FAF8F
	v_pk_mul_f32 v[4:5], v[144:145], v[144:145]                // 000000007490: D3B14004 18032190
	v_pk_mul_f32 v[6:7], v[146:147], v[146:147]                // 000000007498: D3B14006 18032592
	v_pk_fma_f32 v[4:5], v[4:5], s[78:79], v[8:9]              // 0000000074A0: D3B04004 1C209D04
	v_pk_fma_f32 v[6:7], v[6:7], s[78:79], v[8:9]              // 0000000074A8: D3B04006 1C209D06
	v_pk_mul_f32 v[4:5], v[4:5], v[144:145]                    // 0000000074B0: D3B14004 18032104
	v_pk_mul_f32 v[6:7], v[6:7], v[146:147]                    // 0000000074B8: D3B14006 18032506
	v_pk_mul_f32 v[4:5], v[4:5], s[60:61]                      // 0000000074C0: D3B14004 18007904
	v_pk_mul_f32 v[6:7], v[6:7], s[60:61]                      // 0000000074C8: D3B14006 18007906
	v_exp_f32_e32 v4, v4                                       // 0000000074D0: 7E084104
	v_exp_f32_e32 v5, v5                                       // 0000000074D4: 7E0A4105
	v_exp_f32_e32 v6, v6                                       // 0000000074D8: 7E0C4106
	v_exp_f32_e32 v7, v7                                       // 0000000074DC: 7E0E4107
	v_add_f32_e64 v4, v4, 1.0                                  // 0000000074E0: D1010004 0001E504
	v_add_f32_e64 v5, v5, 1.0                                  // 0000000074E8: D1010005 0001E505
	v_add_f32_e64 v6, v6, 1.0                                  // 0000000074F0: D1010006 0001E506
	v_add_f32_e64 v7, v7, 1.0                                  // 0000000074F8: D1010007 0001E507
	v_rcp_f32_e32 v4, v4                                       // 000000007500: 7E084504
	v_rcp_f32_e32 v5, v5                                       // 000000007504: 7E0A4505
	v_rcp_f32_e32 v6, v6                                       // 000000007508: 7E0C4506
	v_rcp_f32_e32 v7, v7                                       // 00000000750C: 7E0E4507
	v_mul_f32_e32 v144, v144, v4                               // 000000007510: 0B200990
	v_mul_f32_e32 v145, v145, v5                               // 000000007514: 0B220B91
	v_mul_f32_e32 v146, v146, v6                               // 000000007518: 0B240D92
	v_mul_f32_e32 v147, v147, v7                               // 00000000751C: 0B260F93
	v_mul_f32_e32 v144, v144, v216                             // 000000007520: 0B21B190
	v_mul_f32_e32 v145, v145, v217                             // 000000007524: 0B23B391
	v_mul_f32_e32 v146, v146, v218                             // 000000007528: 0B25B592
	v_mul_f32_e32 v147, v147, v219                             // 00000000752C: 0B27B793
	v_pk_mul_f32 v[4:5], v[148:149], v[148:149]                // 000000007530: D3B14004 18032994
	v_pk_mul_f32 v[6:7], v[150:151], v[150:151]                // 000000007538: D3B14006 18032D96
	v_pk_fma_f32 v[4:5], v[4:5], s[78:79], v[8:9]              // 000000007540: D3B04004 1C209D04
	v_pk_fma_f32 v[6:7], v[6:7], s[78:79], v[8:9]              // 000000007548: D3B04006 1C209D06
	v_pk_mul_f32 v[4:5], v[4:5], v[148:149]                    // 000000007550: D3B14004 18032904
	v_pk_mul_f32 v[6:7], v[6:7], v[150:151]                    // 000000007558: D3B14006 18032D06
	v_pk_mul_f32 v[4:5], v[4:5], s[60:61]                      // 000000007560: D3B14004 18007904
	v_pk_mul_f32 v[6:7], v[6:7], s[60:61]                      // 000000007568: D3B14006 18007906
	v_exp_f32_e32 v4, v4                                       // 000000007570: 7E084104
	v_exp_f32_e32 v5, v5                                       // 000000007574: 7E0A4105
	v_exp_f32_e32 v6, v6                                       // 000000007578: 7E0C4106
	v_exp_f32_e32 v7, v7                                       // 00000000757C: 7E0E4107
	v_add_f32_e64 v4, v4, 1.0                                  // 000000007580: D1010004 0001E504
	v_add_f32_e64 v5, v5, 1.0                                  // 000000007588: D1010005 0001E505
	v_add_f32_e64 v6, v6, 1.0                                  // 000000007590: D1010006 0001E506
	v_add_f32_e64 v7, v7, 1.0                                  // 000000007598: D1010007 0001E507
	v_rcp_f32_e32 v4, v4                                       // 0000000075A0: 7E084504
	v_rcp_f32_e32 v5, v5                                       // 0000000075A4: 7E0A4505
	v_rcp_f32_e32 v6, v6                                       // 0000000075A8: 7E0C4506
	v_rcp_f32_e32 v7, v7                                       // 0000000075AC: 7E0E4507
	v_mul_f32_e32 v148, v148, v4                               // 0000000075B0: 0B280994
	v_mul_f32_e32 v149, v149, v5                               // 0000000075B4: 0B2A0B95
	v_mul_f32_e32 v150, v150, v6                               // 0000000075B8: 0B2C0D96
	v_mul_f32_e32 v151, v151, v7                               // 0000000075BC: 0B2E0F97
	v_mul_f32_e32 v148, v148, v220                             // 0000000075C0: 0B29B994
	v_mul_f32_e32 v149, v149, v221                             // 0000000075C4: 0B2BBB95
	v_mul_f32_e32 v150, v150, v222                             // 0000000075C8: 0B2DBD96
	v_mul_f32_e32 v151, v151, v223                             // 0000000075CC: 0B2FBF97
	v_pk_mul_f32 v[4:5], v[152:153], v[152:153]                // 0000000075D0: D3B14004 18033198
	v_pk_mul_f32 v[6:7], v[154:155], v[154:155]                // 0000000075D8: D3B14006 1803359A
	v_pk_fma_f32 v[4:5], v[4:5], s[78:79], v[8:9]              // 0000000075E0: D3B04004 1C209D04
	v_pk_fma_f32 v[6:7], v[6:7], s[78:79], v[8:9]              // 0000000075E8: D3B04006 1C209D06
	v_pk_mul_f32 v[4:5], v[4:5], v[152:153]                    // 0000000075F0: D3B14004 18033104
	v_pk_mul_f32 v[6:7], v[6:7], v[154:155]                    // 0000000075F8: D3B14006 18033506
	v_pk_mul_f32 v[4:5], v[4:5], s[60:61]                      // 000000007600: D3B14004 18007904
	v_pk_mul_f32 v[6:7], v[6:7], s[60:61]                      // 000000007608: D3B14006 18007906
	v_exp_f32_e32 v4, v4                                       // 000000007610: 7E084104
	v_exp_f32_e32 v5, v5                                       // 000000007614: 7E0A4105
	v_exp_f32_e32 v6, v6                                       // 000000007618: 7E0C4106
	v_exp_f32_e32 v7, v7                                       // 00000000761C: 7E0E4107
	v_add_f32_e64 v4, v4, 1.0                                  // 000000007620: D1010004 0001E504
	v_add_f32_e64 v5, v5, 1.0                                  // 000000007628: D1010005 0001E505
	v_add_f32_e64 v6, v6, 1.0                                  // 000000007630: D1010006 0001E506
	v_add_f32_e64 v7, v7, 1.0                                  // 000000007638: D1010007 0001E507
	v_rcp_f32_e32 v4, v4                                       // 000000007640: 7E084504
	v_rcp_f32_e32 v5, v5                                       // 000000007644: 7E0A4505
	v_rcp_f32_e32 v6, v6                                       // 000000007648: 7E0C4506
	v_rcp_f32_e32 v7, v7                                       // 00000000764C: 7E0E4507
	v_mul_f32_e32 v152, v152, v4                               // 000000007650: 0B300998
	v_mul_f32_e32 v153, v153, v5                               // 000000007654: 0B320B99
	v_mul_f32_e32 v154, v154, v6                               // 000000007658: 0B340D9A
	v_mul_f32_e32 v155, v155, v7                               // 00000000765C: 0B360F9B
	v_mul_f32_e32 v152, v152, v224                             // 000000007660: 0B31C198
	v_mul_f32_e32 v153, v153, v225                             // 000000007664: 0B33C399
	v_mul_f32_e32 v154, v154, v226                             // 000000007668: 0B35C59A
	v_mul_f32_e32 v155, v155, v227                             // 00000000766C: 0B37C79B
	v_pk_mul_f32 v[4:5], v[156:157], v[156:157]                // 000000007670: D3B14004 1803399C
	v_pk_mul_f32 v[6:7], v[158:159], v[158:159]                // 000000007678: D3B14006 18033D9E
	v_pk_fma_f32 v[4:5], v[4:5], s[78:79], v[8:9]              // 000000007680: D3B04004 1C209D04
	v_pk_fma_f32 v[6:7], v[6:7], s[78:79], v[8:9]              // 000000007688: D3B04006 1C209D06
	v_pk_mul_f32 v[4:5], v[4:5], v[156:157]                    // 000000007690: D3B14004 18033904
	v_pk_mul_f32 v[6:7], v[6:7], v[158:159]                    // 000000007698: D3B14006 18033D06
	v_pk_mul_f32 v[4:5], v[4:5], s[60:61]                      // 0000000076A0: D3B14004 18007904
	v_pk_mul_f32 v[6:7], v[6:7], s[60:61]                      // 0000000076A8: D3B14006 18007906
	v_exp_f32_e32 v4, v4                                       // 0000000076B0: 7E084104
	v_exp_f32_e32 v5, v5                                       // 0000000076B4: 7E0A4105
	v_exp_f32_e32 v6, v6                                       // 0000000076B8: 7E0C4106
	v_exp_f32_e32 v7, v7                                       // 0000000076BC: 7E0E4107
	v_add_f32_e64 v4, v4, 1.0                                  // 0000000076C0: D1010004 0001E504
	v_add_f32_e64 v5, v5, 1.0                                  // 0000000076C8: D1010005 0001E505
	v_add_f32_e64 v6, v6, 1.0                                  // 0000000076D0: D1010006 0001E506
	v_add_f32_e64 v7, v7, 1.0                                  // 0000000076D8: D1010007 0001E507
	v_rcp_f32_e32 v4, v4                                       // 0000000076E0: 7E084504
	v_rcp_f32_e32 v5, v5                                       // 0000000076E4: 7E0A4505
	v_rcp_f32_e32 v6, v6                                       // 0000000076E8: 7E0C4506
	v_rcp_f32_e32 v7, v7                                       // 0000000076EC: 7E0E4507
	v_mul_f32_e32 v156, v156, v4                               // 0000000076F0: 0B38099C
	v_mul_f32_e32 v157, v157, v5                               // 0000000076F4: 0B3A0B9D
	v_mul_f32_e32 v158, v158, v6                               // 0000000076F8: 0B3C0D9E
	v_mul_f32_e32 v159, v159, v7                               // 0000000076FC: 0B3E0F9F
	v_mul_f32_e32 v156, v156, v228                             // 000000007700: 0B39C99C
	v_mul_f32_e32 v157, v157, v229                             // 000000007704: 0B3BCB9D
	v_mul_f32_e32 v158, v158, v230                             // 000000007708: 0B3DCD9E
	v_mul_f32_e32 v159, v159, v231                             // 00000000770C: 0B3FCF9F
	s_branch label_1585                                        // 000000007710: BF820240

0000000000007714 <label_1345>:
	v_mul_f32_e64 v4, -v88, s6                                 // 000000007714: D1050004 20000D58
	v_mul_f32_e64 v5, -v89, s6                                 // 00000000771C: D1050005 20000D59
	v_mul_f32_e64 v6, -v90, s6                                 // 000000007724: D1050006 20000D5A
	v_mul_f32_e64 v7, -v91, s6                                 // 00000000772C: D1050007 20000D5B
	v_exp_f32_e32 v4, v4                                       // 000000007734: 7E084104
	v_exp_f32_e32 v5, v5                                       // 000000007738: 7E0A4105
	v_exp_f32_e32 v6, v6                                       // 00000000773C: 7E0C4106
	v_exp_f32_e32 v7, v7                                       // 000000007740: 7E0E4107
	v_add_f32_e64 v4, v4, 1.0                                  // 000000007744: D1010004 0001E504
	v_add_f32_e64 v5, v5, 1.0                                  // 00000000774C: D1010005 0001E505
	v_add_f32_e64 v6, v6, 1.0                                  // 000000007754: D1010006 0001E506
	v_add_f32_e64 v7, v7, 1.0                                  // 00000000775C: D1010007 0001E507
	v_rcp_f32_e32 v4, v4                                       // 000000007764: 7E084504
	v_rcp_f32_e32 v5, v5                                       // 000000007768: 7E0A4505
	v_rcp_f32_e32 v6, v6                                       // 00000000776C: 7E0C4506
	v_rcp_f32_e32 v7, v7                                       // 000000007770: 7E0E4507
	v_mul_f32_e32 v88, v88, v4                                 // 000000007774: 0AB00958
	v_mul_f32_e32 v89, v89, v5                                 // 000000007778: 0AB20B59
	v_mul_f32_e32 v90, v90, v6                                 // 00000000777C: 0AB40D5A
	v_mul_f32_e32 v91, v91, v7                                 // 000000007780: 0AB60F5B
	v_mul_f32_e32 v88, v88, v160                               // 000000007784: 0AB14158
	v_mul_f32_e32 v89, v89, v161                               // 000000007788: 0AB34359
	v_mul_f32_e32 v90, v90, v162                               // 00000000778C: 0AB5455A
	v_mul_f32_e32 v91, v91, v163                               // 000000007790: 0AB7475B
	v_mul_f32_e64 v4, -v92, s6                                 // 000000007794: D1050004 20000D5C
	v_mul_f32_e64 v5, -v93, s6                                 // 00000000779C: D1050005 20000D5D
	v_mul_f32_e64 v6, -v94, s6                                 // 0000000077A4: D1050006 20000D5E
	v_mul_f32_e64 v7, -v95, s6                                 // 0000000077AC: D1050007 20000D5F
	v_exp_f32_e32 v4, v4                                       // 0000000077B4: 7E084104
	v_exp_f32_e32 v5, v5                                       // 0000000077B8: 7E0A4105
	v_exp_f32_e32 v6, v6                                       // 0000000077BC: 7E0C4106
	v_exp_f32_e32 v7, v7                                       // 0000000077C0: 7E0E4107
	v_add_f32_e64 v4, v4, 1.0                                  // 0000000077C4: D1010004 0001E504
	v_add_f32_e64 v5, v5, 1.0                                  // 0000000077CC: D1010005 0001E505
	v_add_f32_e64 v6, v6, 1.0                                  // 0000000077D4: D1010006 0001E506
	v_add_f32_e64 v7, v7, 1.0                                  // 0000000077DC: D1010007 0001E507
	v_rcp_f32_e32 v4, v4                                       // 0000000077E4: 7E084504
	v_rcp_f32_e32 v5, v5                                       // 0000000077E8: 7E0A4505
	v_rcp_f32_e32 v6, v6                                       // 0000000077EC: 7E0C4506
	v_rcp_f32_e32 v7, v7                                       // 0000000077F0: 7E0E4507
	v_mul_f32_e32 v92, v92, v4                                 // 0000000077F4: 0AB8095C
	v_mul_f32_e32 v93, v93, v5                                 // 0000000077F8: 0ABA0B5D
	v_mul_f32_e32 v94, v94, v6                                 // 0000000077FC: 0ABC0D5E
	v_mul_f32_e32 v95, v95, v7                                 // 000000007800: 0ABE0F5F
	v_mul_f32_e32 v92, v92, v164                               // 000000007804: 0AB9495C
	v_mul_f32_e32 v93, v93, v165                               // 000000007808: 0ABB4B5D
	v_mul_f32_e32 v94, v94, v166                               // 00000000780C: 0ABD4D5E
	v_mul_f32_e32 v95, v95, v167                               // 000000007810: 0ABF4F5F
	v_mul_f32_e64 v4, -v96, s6                                 // 000000007814: D1050004 20000D60
	v_mul_f32_e64 v5, -v97, s6                                 // 00000000781C: D1050005 20000D61
	v_mul_f32_e64 v6, -v98, s6                                 // 000000007824: D1050006 20000D62
	v_mul_f32_e64 v7, -v99, s6                                 // 00000000782C: D1050007 20000D63
	v_exp_f32_e32 v4, v4                                       // 000000007834: 7E084104
	v_exp_f32_e32 v5, v5                                       // 000000007838: 7E0A4105
	v_exp_f32_e32 v6, v6                                       // 00000000783C: 7E0C4106
	v_exp_f32_e32 v7, v7                                       // 000000007840: 7E0E4107
	v_add_f32_e64 v4, v4, 1.0                                  // 000000007844: D1010004 0001E504
	v_add_f32_e64 v5, v5, 1.0                                  // 00000000784C: D1010005 0001E505
	v_add_f32_e64 v6, v6, 1.0                                  // 000000007854: D1010006 0001E506
	v_add_f32_e64 v7, v7, 1.0                                  // 00000000785C: D1010007 0001E507
	v_rcp_f32_e32 v4, v4                                       // 000000007864: 7E084504
	v_rcp_f32_e32 v5, v5                                       // 000000007868: 7E0A4505
	v_rcp_f32_e32 v6, v6                                       // 00000000786C: 7E0C4506
	v_rcp_f32_e32 v7, v7                                       // 000000007870: 7E0E4507
	v_mul_f32_e32 v96, v96, v4                                 // 000000007874: 0AC00960
	v_mul_f32_e32 v97, v97, v5                                 // 000000007878: 0AC20B61
	v_mul_f32_e32 v98, v98, v6                                 // 00000000787C: 0AC40D62
	v_mul_f32_e32 v99, v99, v7                                 // 000000007880: 0AC60F63
	v_mul_f32_e32 v96, v96, v168                               // 000000007884: 0AC15160
	v_mul_f32_e32 v97, v97, v169                               // 000000007888: 0AC35361
	v_mul_f32_e32 v98, v98, v170                               // 00000000788C: 0AC55562
	v_mul_f32_e32 v99, v99, v171                               // 000000007890: 0AC75763
	v_mul_f32_e64 v4, -v100, s6                                // 000000007894: D1050004 20000D64
	v_mul_f32_e64 v5, -v101, s6                                // 00000000789C: D1050005 20000D65
	v_mul_f32_e64 v6, -v102, s6                                // 0000000078A4: D1050006 20000D66
	v_mul_f32_e64 v7, -v103, s6                                // 0000000078AC: D1050007 20000D67
	v_exp_f32_e32 v4, v4                                       // 0000000078B4: 7E084104
	v_exp_f32_e32 v5, v5                                       // 0000000078B8: 7E0A4105
	v_exp_f32_e32 v6, v6                                       // 0000000078BC: 7E0C4106
	v_exp_f32_e32 v7, v7                                       // 0000000078C0: 7E0E4107
	v_add_f32_e64 v4, v4, 1.0                                  // 0000000078C4: D1010004 0001E504
	v_add_f32_e64 v5, v5, 1.0                                  // 0000000078CC: D1010005 0001E505
	v_add_f32_e64 v6, v6, 1.0                                  // 0000000078D4: D1010006 0001E506
	v_add_f32_e64 v7, v7, 1.0                                  // 0000000078DC: D1010007 0001E507
	v_rcp_f32_e32 v4, v4                                       // 0000000078E4: 7E084504
	v_rcp_f32_e32 v5, v5                                       // 0000000078E8: 7E0A4505
	v_rcp_f32_e32 v6, v6                                       // 0000000078EC: 7E0C4506
	v_rcp_f32_e32 v7, v7                                       // 0000000078F0: 7E0E4507
	v_mul_f32_e32 v100, v100, v4                               // 0000000078F4: 0AC80964
	v_mul_f32_e32 v101, v101, v5                               // 0000000078F8: 0ACA0B65
	v_mul_f32_e32 v102, v102, v6                               // 0000000078FC: 0ACC0D66
	v_mul_f32_e32 v103, v103, v7                               // 000000007900: 0ACE0F67
	v_mul_f32_e32 v100, v100, v172                             // 000000007904: 0AC95964
	v_mul_f32_e32 v101, v101, v173                             // 000000007908: 0ACB5B65
	v_mul_f32_e32 v102, v102, v174                             // 00000000790C: 0ACD5D66
	v_mul_f32_e32 v103, v103, v175                             // 000000007910: 0ACF5F67
	v_mul_f32_e64 v4, -v104, s6                                // 000000007914: D1050004 20000D68
	v_mul_f32_e64 v5, -v105, s6                                // 00000000791C: D1050005 20000D69
	v_mul_f32_e64 v6, -v106, s6                                // 000000007924: D1050006 20000D6A
	v_mul_f32_e64 v7, -v107, s6                                // 00000000792C: D1050007 20000D6B
	v_exp_f32_e32 v4, v4                                       // 000000007934: 7E084104
	v_exp_f32_e32 v5, v5                                       // 000000007938: 7E0A4105
	v_exp_f32_e32 v6, v6                                       // 00000000793C: 7E0C4106
	v_exp_f32_e32 v7, v7                                       // 000000007940: 7E0E4107
	v_add_f32_e64 v4, v4, 1.0                                  // 000000007944: D1010004 0001E504
	v_add_f32_e64 v5, v5, 1.0                                  // 00000000794C: D1010005 0001E505
	v_add_f32_e64 v6, v6, 1.0                                  // 000000007954: D1010006 0001E506
	v_add_f32_e64 v7, v7, 1.0                                  // 00000000795C: D1010007 0001E507
	v_rcp_f32_e32 v4, v4                                       // 000000007964: 7E084504
	v_rcp_f32_e32 v5, v5                                       // 000000007968: 7E0A4505
	v_rcp_f32_e32 v6, v6                                       // 00000000796C: 7E0C4506
	v_rcp_f32_e32 v7, v7                                       // 000000007970: 7E0E4507
	v_mul_f32_e32 v104, v104, v4                               // 000000007974: 0AD00968
	v_mul_f32_e32 v105, v105, v5                               // 000000007978: 0AD20B69
	v_mul_f32_e32 v106, v106, v6                               // 00000000797C: 0AD40D6A
	v_mul_f32_e32 v107, v107, v7                               // 000000007980: 0AD60F6B
	v_mul_f32_e32 v104, v104, v176                             // 000000007984: 0AD16168
	v_mul_f32_e32 v105, v105, v177                             // 000000007988: 0AD36369
	v_mul_f32_e32 v106, v106, v178                             // 00000000798C: 0AD5656A
	v_mul_f32_e32 v107, v107, v179                             // 000000007990: 0AD7676B
	v_mul_f32_e64 v4, -v108, s6                                // 000000007994: D1050004 20000D6C
	v_mul_f32_e64 v5, -v109, s6                                // 00000000799C: D1050005 20000D6D
	v_mul_f32_e64 v6, -v110, s6                                // 0000000079A4: D1050006 20000D6E
	v_mul_f32_e64 v7, -v111, s6                                // 0000000079AC: D1050007 20000D6F
	v_exp_f32_e32 v4, v4                                       // 0000000079B4: 7E084104
	v_exp_f32_e32 v5, v5                                       // 0000000079B8: 7E0A4105
	v_exp_f32_e32 v6, v6                                       // 0000000079BC: 7E0C4106
	v_exp_f32_e32 v7, v7                                       // 0000000079C0: 7E0E4107
	v_add_f32_e64 v4, v4, 1.0                                  // 0000000079C4: D1010004 0001E504
	v_add_f32_e64 v5, v5, 1.0                                  // 0000000079CC: D1010005 0001E505
	v_add_f32_e64 v6, v6, 1.0                                  // 0000000079D4: D1010006 0001E506
	v_add_f32_e64 v7, v7, 1.0                                  // 0000000079DC: D1010007 0001E507
	v_rcp_f32_e32 v4, v4                                       // 0000000079E4: 7E084504
	v_rcp_f32_e32 v5, v5                                       // 0000000079E8: 7E0A4505
	v_rcp_f32_e32 v6, v6                                       // 0000000079EC: 7E0C4506
	v_rcp_f32_e32 v7, v7                                       // 0000000079F0: 7E0E4507
	v_mul_f32_e32 v108, v108, v4                               // 0000000079F4: 0AD8096C
	v_mul_f32_e32 v109, v109, v5                               // 0000000079F8: 0ADA0B6D
	v_mul_f32_e32 v110, v110, v6                               // 0000000079FC: 0ADC0D6E
	v_mul_f32_e32 v111, v111, v7                               // 000000007A00: 0ADE0F6F
	v_mul_f32_e32 v108, v108, v180                             // 000000007A04: 0AD9696C
	v_mul_f32_e32 v109, v109, v181                             // 000000007A08: 0ADB6B6D
	v_mul_f32_e32 v110, v110, v182                             // 000000007A0C: 0ADD6D6E
	v_mul_f32_e32 v111, v111, v183                             // 000000007A10: 0ADF6F6F
	v_mul_f32_e64 v4, -v112, s6                                // 000000007A14: D1050004 20000D70
	v_mul_f32_e64 v5, -v113, s6                                // 000000007A1C: D1050005 20000D71
	v_mul_f32_e64 v6, -v114, s6                                // 000000007A24: D1050006 20000D72
	v_mul_f32_e64 v7, -v115, s6                                // 000000007A2C: D1050007 20000D73
	v_exp_f32_e32 v4, v4                                       // 000000007A34: 7E084104
	v_exp_f32_e32 v5, v5                                       // 000000007A38: 7E0A4105
	v_exp_f32_e32 v6, v6                                       // 000000007A3C: 7E0C4106
	v_exp_f32_e32 v7, v7                                       // 000000007A40: 7E0E4107
	v_add_f32_e64 v4, v4, 1.0                                  // 000000007A44: D1010004 0001E504
	v_add_f32_e64 v5, v5, 1.0                                  // 000000007A4C: D1010005 0001E505
	v_add_f32_e64 v6, v6, 1.0                                  // 000000007A54: D1010006 0001E506
	v_add_f32_e64 v7, v7, 1.0                                  // 000000007A5C: D1010007 0001E507
	v_rcp_f32_e32 v4, v4                                       // 000000007A64: 7E084504
	v_rcp_f32_e32 v5, v5                                       // 000000007A68: 7E0A4505
	v_rcp_f32_e32 v6, v6                                       // 000000007A6C: 7E0C4506
	v_rcp_f32_e32 v7, v7                                       // 000000007A70: 7E0E4507
	v_mul_f32_e32 v112, v112, v4                               // 000000007A74: 0AE00970
	v_mul_f32_e32 v113, v113, v5                               // 000000007A78: 0AE20B71
	v_mul_f32_e32 v114, v114, v6                               // 000000007A7C: 0AE40D72
	v_mul_f32_e32 v115, v115, v7                               // 000000007A80: 0AE60F73
	v_mul_f32_e32 v112, v112, v184                             // 000000007A84: 0AE17170
	v_mul_f32_e32 v113, v113, v185                             // 000000007A88: 0AE37371
	v_mul_f32_e32 v114, v114, v186                             // 000000007A8C: 0AE57572
	v_mul_f32_e32 v115, v115, v187                             // 000000007A90: 0AE77773
	v_mul_f32_e64 v4, -v116, s6                                // 000000007A94: D1050004 20000D74
	v_mul_f32_e64 v5, -v117, s6                                // 000000007A9C: D1050005 20000D75
	v_mul_f32_e64 v6, -v118, s6                                // 000000007AA4: D1050006 20000D76
	v_mul_f32_e64 v7, -v119, s6                                // 000000007AAC: D1050007 20000D77
	v_exp_f32_e32 v4, v4                                       // 000000007AB4: 7E084104
	v_exp_f32_e32 v5, v5                                       // 000000007AB8: 7E0A4105
	v_exp_f32_e32 v6, v6                                       // 000000007ABC: 7E0C4106
	v_exp_f32_e32 v7, v7                                       // 000000007AC0: 7E0E4107
	v_add_f32_e64 v4, v4, 1.0                                  // 000000007AC4: D1010004 0001E504
	v_add_f32_e64 v5, v5, 1.0                                  // 000000007ACC: D1010005 0001E505
	v_add_f32_e64 v6, v6, 1.0                                  // 000000007AD4: D1010006 0001E506
	v_add_f32_e64 v7, v7, 1.0                                  // 000000007ADC: D1010007 0001E507
	v_rcp_f32_e32 v4, v4                                       // 000000007AE4: 7E084504
	v_rcp_f32_e32 v5, v5                                       // 000000007AE8: 7E0A4505
	v_rcp_f32_e32 v6, v6                                       // 000000007AEC: 7E0C4506
	v_rcp_f32_e32 v7, v7                                       // 000000007AF0: 7E0E4507
	v_mul_f32_e32 v116, v116, v4                               // 000000007AF4: 0AE80974
	v_mul_f32_e32 v117, v117, v5                               // 000000007AF8: 0AEA0B75
	v_mul_f32_e32 v118, v118, v6                               // 000000007AFC: 0AEC0D76
	v_mul_f32_e32 v119, v119, v7                               // 000000007B00: 0AEE0F77
	v_mul_f32_e32 v116, v116, v188                             // 000000007B04: 0AE97974
	v_mul_f32_e32 v117, v117, v189                             // 000000007B08: 0AEB7B75
	v_mul_f32_e32 v118, v118, v190                             // 000000007B0C: 0AED7D76
	v_mul_f32_e32 v119, v119, v191                             // 000000007B10: 0AEF7F77
	v_mul_f32_e64 v4, -v120, s6                                // 000000007B14: D1050004 20000D78
	v_mul_f32_e64 v5, -v121, s6                                // 000000007B1C: D1050005 20000D79
	v_mul_f32_e64 v6, -v122, s6                                // 000000007B24: D1050006 20000D7A
	v_mul_f32_e64 v7, -v123, s6                                // 000000007B2C: D1050007 20000D7B
	v_exp_f32_e32 v4, v4                                       // 000000007B34: 7E084104
	v_exp_f32_e32 v5, v5                                       // 000000007B38: 7E0A4105
	v_exp_f32_e32 v6, v6                                       // 000000007B3C: 7E0C4106
	v_exp_f32_e32 v7, v7                                       // 000000007B40: 7E0E4107
	v_add_f32_e64 v4, v4, 1.0                                  // 000000007B44: D1010004 0001E504
	v_add_f32_e64 v5, v5, 1.0                                  // 000000007B4C: D1010005 0001E505
	v_add_f32_e64 v6, v6, 1.0                                  // 000000007B54: D1010006 0001E506
	v_add_f32_e64 v7, v7, 1.0                                  // 000000007B5C: D1010007 0001E507
	v_rcp_f32_e32 v4, v4                                       // 000000007B64: 7E084504
	v_rcp_f32_e32 v5, v5                                       // 000000007B68: 7E0A4505
	v_rcp_f32_e32 v6, v6                                       // 000000007B6C: 7E0C4506
	v_rcp_f32_e32 v7, v7                                       // 000000007B70: 7E0E4507
	v_mul_f32_e32 v120, v120, v4                               // 000000007B74: 0AF00978
	v_mul_f32_e32 v121, v121, v5                               // 000000007B78: 0AF20B79
	v_mul_f32_e32 v122, v122, v6                               // 000000007B7C: 0AF40D7A
	v_mul_f32_e32 v123, v123, v7                               // 000000007B80: 0AF60F7B
	v_mul_f32_e32 v120, v120, v192                             // 000000007B84: 0AF18178
	v_mul_f32_e32 v121, v121, v193                             // 000000007B88: 0AF38379
	v_mul_f32_e32 v122, v122, v194                             // 000000007B8C: 0AF5857A
	v_mul_f32_e32 v123, v123, v195                             // 000000007B90: 0AF7877B
	v_mul_f32_e64 v4, -v124, s6                                // 000000007B94: D1050004 20000D7C
	v_mul_f32_e64 v5, -v125, s6                                // 000000007B9C: D1050005 20000D7D
	v_mul_f32_e64 v6, -v126, s6                                // 000000007BA4: D1050006 20000D7E
	v_mul_f32_e64 v7, -v127, s6                                // 000000007BAC: D1050007 20000D7F
	v_exp_f32_e32 v4, v4                                       // 000000007BB4: 7E084104
	v_exp_f32_e32 v5, v5                                       // 000000007BB8: 7E0A4105
	v_exp_f32_e32 v6, v6                                       // 000000007BBC: 7E0C4106
	v_exp_f32_e32 v7, v7                                       // 000000007BC0: 7E0E4107
	v_add_f32_e64 v4, v4, 1.0                                  // 000000007BC4: D1010004 0001E504
	v_add_f32_e64 v5, v5, 1.0                                  // 000000007BCC: D1010005 0001E505
	v_add_f32_e64 v6, v6, 1.0                                  // 000000007BD4: D1010006 0001E506
	v_add_f32_e64 v7, v7, 1.0                                  // 000000007BDC: D1010007 0001E507
	v_rcp_f32_e32 v4, v4                                       // 000000007BE4: 7E084504
	v_rcp_f32_e32 v5, v5                                       // 000000007BE8: 7E0A4505
	v_rcp_f32_e32 v6, v6                                       // 000000007BEC: 7E0C4506
	v_rcp_f32_e32 v7, v7                                       // 000000007BF0: 7E0E4507
	v_mul_f32_e32 v124, v124, v4                               // 000000007BF4: 0AF8097C
	v_mul_f32_e32 v125, v125, v5                               // 000000007BF8: 0AFA0B7D
	v_mul_f32_e32 v126, v126, v6                               // 000000007BFC: 0AFC0D7E
	v_mul_f32_e32 v127, v127, v7                               // 000000007C00: 0AFE0F7F
	v_mul_f32_e32 v124, v124, v196                             // 000000007C04: 0AF9897C
	v_mul_f32_e32 v125, v125, v197                             // 000000007C08: 0AFB8B7D
	v_mul_f32_e32 v126, v126, v198                             // 000000007C0C: 0AFD8D7E
	v_mul_f32_e32 v127, v127, v199                             // 000000007C10: 0AFF8F7F
	v_mul_f32_e64 v4, -v128, s6                                // 000000007C14: D1050004 20000D80
	v_mul_f32_e64 v5, -v129, s6                                // 000000007C1C: D1050005 20000D81
	v_mul_f32_e64 v6, -v130, s6                                // 000000007C24: D1050006 20000D82
	v_mul_f32_e64 v7, -v131, s6                                // 000000007C2C: D1050007 20000D83
	v_exp_f32_e32 v4, v4                                       // 000000007C34: 7E084104
	v_exp_f32_e32 v5, v5                                       // 000000007C38: 7E0A4105
	v_exp_f32_e32 v6, v6                                       // 000000007C3C: 7E0C4106
	v_exp_f32_e32 v7, v7                                       // 000000007C40: 7E0E4107
	v_add_f32_e64 v4, v4, 1.0                                  // 000000007C44: D1010004 0001E504
	v_add_f32_e64 v5, v5, 1.0                                  // 000000007C4C: D1010005 0001E505
	v_add_f32_e64 v6, v6, 1.0                                  // 000000007C54: D1010006 0001E506
	v_add_f32_e64 v7, v7, 1.0                                  // 000000007C5C: D1010007 0001E507
	v_rcp_f32_e32 v4, v4                                       // 000000007C64: 7E084504
	v_rcp_f32_e32 v5, v5                                       // 000000007C68: 7E0A4505
	v_rcp_f32_e32 v6, v6                                       // 000000007C6C: 7E0C4506
	v_rcp_f32_e32 v7, v7                                       // 000000007C70: 7E0E4507
	v_mul_f32_e32 v128, v128, v4                               // 000000007C74: 0B000980
	v_mul_f32_e32 v129, v129, v5                               // 000000007C78: 0B020B81
	v_mul_f32_e32 v130, v130, v6                               // 000000007C7C: 0B040D82
	v_mul_f32_e32 v131, v131, v7                               // 000000007C80: 0B060F83
	v_mul_f32_e32 v128, v128, v200                             // 000000007C84: 0B019180
	v_mul_f32_e32 v129, v129, v201                             // 000000007C88: 0B039381
	v_mul_f32_e32 v130, v130, v202                             // 000000007C8C: 0B059582
	v_mul_f32_e32 v131, v131, v203                             // 000000007C90: 0B079783
	v_mul_f32_e64 v4, -v132, s6                                // 000000007C94: D1050004 20000D84
	v_mul_f32_e64 v5, -v133, s6                                // 000000007C9C: D1050005 20000D85
	v_mul_f32_e64 v6, -v134, s6                                // 000000007CA4: D1050006 20000D86
	v_mul_f32_e64 v7, -v135, s6                                // 000000007CAC: D1050007 20000D87
	v_exp_f32_e32 v4, v4                                       // 000000007CB4: 7E084104
	v_exp_f32_e32 v5, v5                                       // 000000007CB8: 7E0A4105
	v_exp_f32_e32 v6, v6                                       // 000000007CBC: 7E0C4106
	v_exp_f32_e32 v7, v7                                       // 000000007CC0: 7E0E4107
	v_add_f32_e64 v4, v4, 1.0                                  // 000000007CC4: D1010004 0001E504
	v_add_f32_e64 v5, v5, 1.0                                  // 000000007CCC: D1010005 0001E505
	v_add_f32_e64 v6, v6, 1.0                                  // 000000007CD4: D1010006 0001E506
	v_add_f32_e64 v7, v7, 1.0                                  // 000000007CDC: D1010007 0001E507
	v_rcp_f32_e32 v4, v4                                       // 000000007CE4: 7E084504
	v_rcp_f32_e32 v5, v5                                       // 000000007CE8: 7E0A4505
	v_rcp_f32_e32 v6, v6                                       // 000000007CEC: 7E0C4506
	v_rcp_f32_e32 v7, v7                                       // 000000007CF0: 7E0E4507
	v_mul_f32_e32 v132, v132, v4                               // 000000007CF4: 0B080984
	v_mul_f32_e32 v133, v133, v5                               // 000000007CF8: 0B0A0B85
	v_mul_f32_e32 v134, v134, v6                               // 000000007CFC: 0B0C0D86
	v_mul_f32_e32 v135, v135, v7                               // 000000007D00: 0B0E0F87
	v_mul_f32_e32 v132, v132, v204                             // 000000007D04: 0B099984
	v_mul_f32_e32 v133, v133, v205                             // 000000007D08: 0B0B9B85
	v_mul_f32_e32 v134, v134, v206                             // 000000007D0C: 0B0D9D86
	v_mul_f32_e32 v135, v135, v207                             // 000000007D10: 0B0F9F87
	v_mul_f32_e64 v4, -v136, s6                                // 000000007D14: D1050004 20000D88
	v_mul_f32_e64 v5, -v137, s6                                // 000000007D1C: D1050005 20000D89
	v_mul_f32_e64 v6, -v138, s6                                // 000000007D24: D1050006 20000D8A
	v_mul_f32_e64 v7, -v139, s6                                // 000000007D2C: D1050007 20000D8B
	v_exp_f32_e32 v4, v4                                       // 000000007D34: 7E084104
	v_exp_f32_e32 v5, v5                                       // 000000007D38: 7E0A4105
	v_exp_f32_e32 v6, v6                                       // 000000007D3C: 7E0C4106
	v_exp_f32_e32 v7, v7                                       // 000000007D40: 7E0E4107
	v_add_f32_e64 v4, v4, 1.0                                  // 000000007D44: D1010004 0001E504
	v_add_f32_e64 v5, v5, 1.0                                  // 000000007D4C: D1010005 0001E505
	v_add_f32_e64 v6, v6, 1.0                                  // 000000007D54: D1010006 0001E506
	v_add_f32_e64 v7, v7, 1.0                                  // 000000007D5C: D1010007 0001E507
	v_rcp_f32_e32 v4, v4                                       // 000000007D64: 7E084504
	v_rcp_f32_e32 v5, v5                                       // 000000007D68: 7E0A4505
	v_rcp_f32_e32 v6, v6                                       // 000000007D6C: 7E0C4506
	v_rcp_f32_e32 v7, v7                                       // 000000007D70: 7E0E4507
	v_mul_f32_e32 v136, v136, v4                               // 000000007D74: 0B100988
	v_mul_f32_e32 v137, v137, v5                               // 000000007D78: 0B120B89
	v_mul_f32_e32 v138, v138, v6                               // 000000007D7C: 0B140D8A
	v_mul_f32_e32 v139, v139, v7                               // 000000007D80: 0B160F8B
	v_mul_f32_e32 v136, v136, v208                             // 000000007D84: 0B11A188
	v_mul_f32_e32 v137, v137, v209                             // 000000007D88: 0B13A389
	v_mul_f32_e32 v138, v138, v210                             // 000000007D8C: 0B15A58A
	v_mul_f32_e32 v139, v139, v211                             // 000000007D90: 0B17A78B
	v_mul_f32_e64 v4, -v140, s6                                // 000000007D94: D1050004 20000D8C
	v_mul_f32_e64 v5, -v141, s6                                // 000000007D9C: D1050005 20000D8D
	v_mul_f32_e64 v6, -v142, s6                                // 000000007DA4: D1050006 20000D8E
	v_mul_f32_e64 v7, -v143, s6                                // 000000007DAC: D1050007 20000D8F
	v_exp_f32_e32 v4, v4                                       // 000000007DB4: 7E084104
	v_exp_f32_e32 v5, v5                                       // 000000007DB8: 7E0A4105
	v_exp_f32_e32 v6, v6                                       // 000000007DBC: 7E0C4106
	v_exp_f32_e32 v7, v7                                       // 000000007DC0: 7E0E4107
	v_add_f32_e64 v4, v4, 1.0                                  // 000000007DC4: D1010004 0001E504
	v_add_f32_e64 v5, v5, 1.0                                  // 000000007DCC: D1010005 0001E505
	v_add_f32_e64 v6, v6, 1.0                                  // 000000007DD4: D1010006 0001E506
	v_add_f32_e64 v7, v7, 1.0                                  // 000000007DDC: D1010007 0001E507
	v_rcp_f32_e32 v4, v4                                       // 000000007DE4: 7E084504
	v_rcp_f32_e32 v5, v5                                       // 000000007DE8: 7E0A4505
	v_rcp_f32_e32 v6, v6                                       // 000000007DEC: 7E0C4506
	v_rcp_f32_e32 v7, v7                                       // 000000007DF0: 7E0E4507
	v_mul_f32_e32 v140, v140, v4                               // 000000007DF4: 0B18098C
	v_mul_f32_e32 v141, v141, v5                               // 000000007DF8: 0B1A0B8D
	v_mul_f32_e32 v142, v142, v6                               // 000000007DFC: 0B1C0D8E
	v_mul_f32_e32 v143, v143, v7                               // 000000007E00: 0B1E0F8F
	v_mul_f32_e32 v140, v140, v212                             // 000000007E04: 0B19A98C
	v_mul_f32_e32 v141, v141, v213                             // 000000007E08: 0B1BAB8D
	v_mul_f32_e32 v142, v142, v214                             // 000000007E0C: 0B1DAD8E
	v_mul_f32_e32 v143, v143, v215                             // 000000007E10: 0B1FAF8F
	v_mul_f32_e64 v4, -v144, s6                                // 000000007E14: D1050004 20000D90
	v_mul_f32_e64 v5, -v145, s6                                // 000000007E1C: D1050005 20000D91
	v_mul_f32_e64 v6, -v146, s6                                // 000000007E24: D1050006 20000D92
	v_mul_f32_e64 v7, -v147, s6                                // 000000007E2C: D1050007 20000D93
	v_exp_f32_e32 v4, v4                                       // 000000007E34: 7E084104
	v_exp_f32_e32 v5, v5                                       // 000000007E38: 7E0A4105
	v_exp_f32_e32 v6, v6                                       // 000000007E3C: 7E0C4106
	v_exp_f32_e32 v7, v7                                       // 000000007E40: 7E0E4107
	v_add_f32_e64 v4, v4, 1.0                                  // 000000007E44: D1010004 0001E504
	v_add_f32_e64 v5, v5, 1.0                                  // 000000007E4C: D1010005 0001E505
	v_add_f32_e64 v6, v6, 1.0                                  // 000000007E54: D1010006 0001E506
	v_add_f32_e64 v7, v7, 1.0                                  // 000000007E5C: D1010007 0001E507
	v_rcp_f32_e32 v4, v4                                       // 000000007E64: 7E084504
	v_rcp_f32_e32 v5, v5                                       // 000000007E68: 7E0A4505
	v_rcp_f32_e32 v6, v6                                       // 000000007E6C: 7E0C4506
	v_rcp_f32_e32 v7, v7                                       // 000000007E70: 7E0E4507
	v_mul_f32_e32 v144, v144, v4                               // 000000007E74: 0B200990
	v_mul_f32_e32 v145, v145, v5                               // 000000007E78: 0B220B91
	v_mul_f32_e32 v146, v146, v6                               // 000000007E7C: 0B240D92
	v_mul_f32_e32 v147, v147, v7                               // 000000007E80: 0B260F93
	v_mul_f32_e32 v144, v144, v216                             // 000000007E84: 0B21B190
	v_mul_f32_e32 v145, v145, v217                             // 000000007E88: 0B23B391
	v_mul_f32_e32 v146, v146, v218                             // 000000007E8C: 0B25B592
	v_mul_f32_e32 v147, v147, v219                             // 000000007E90: 0B27B793
	v_mul_f32_e64 v4, -v148, s6                                // 000000007E94: D1050004 20000D94
	v_mul_f32_e64 v5, -v149, s6                                // 000000007E9C: D1050005 20000D95
	v_mul_f32_e64 v6, -v150, s6                                // 000000007EA4: D1050006 20000D96
	v_mul_f32_e64 v7, -v151, s6                                // 000000007EAC: D1050007 20000D97
	v_exp_f32_e32 v4, v4                                       // 000000007EB4: 7E084104
	v_exp_f32_e32 v5, v5                                       // 000000007EB8: 7E0A4105
	v_exp_f32_e32 v6, v6                                       // 000000007EBC: 7E0C4106
	v_exp_f32_e32 v7, v7                                       // 000000007EC0: 7E0E4107
	v_add_f32_e64 v4, v4, 1.0                                  // 000000007EC4: D1010004 0001E504
	v_add_f32_e64 v5, v5, 1.0                                  // 000000007ECC: D1010005 0001E505
	v_add_f32_e64 v6, v6, 1.0                                  // 000000007ED4: D1010006 0001E506
	v_add_f32_e64 v7, v7, 1.0                                  // 000000007EDC: D1010007 0001E507
	v_rcp_f32_e32 v4, v4                                       // 000000007EE4: 7E084504
	v_rcp_f32_e32 v5, v5                                       // 000000007EE8: 7E0A4505
	v_rcp_f32_e32 v6, v6                                       // 000000007EEC: 7E0C4506
	v_rcp_f32_e32 v7, v7                                       // 000000007EF0: 7E0E4507
	v_mul_f32_e32 v148, v148, v4                               // 000000007EF4: 0B280994
	v_mul_f32_e32 v149, v149, v5                               // 000000007EF8: 0B2A0B95
	v_mul_f32_e32 v150, v150, v6                               // 000000007EFC: 0B2C0D96
	v_mul_f32_e32 v151, v151, v7                               // 000000007F00: 0B2E0F97
	v_mul_f32_e32 v148, v148, v220                             // 000000007F04: 0B29B994
	v_mul_f32_e32 v149, v149, v221                             // 000000007F08: 0B2BBB95
	v_mul_f32_e32 v150, v150, v222                             // 000000007F0C: 0B2DBD96
	v_mul_f32_e32 v151, v151, v223                             // 000000007F10: 0B2FBF97
	v_mul_f32_e64 v4, -v152, s6                                // 000000007F14: D1050004 20000D98
	v_mul_f32_e64 v5, -v153, s6                                // 000000007F1C: D1050005 20000D99
	v_mul_f32_e64 v6, -v154, s6                                // 000000007F24: D1050006 20000D9A
	v_mul_f32_e64 v7, -v155, s6                                // 000000007F2C: D1050007 20000D9B
	v_exp_f32_e32 v4, v4                                       // 000000007F34: 7E084104
	v_exp_f32_e32 v5, v5                                       // 000000007F38: 7E0A4105
	v_exp_f32_e32 v6, v6                                       // 000000007F3C: 7E0C4106
	v_exp_f32_e32 v7, v7                                       // 000000007F40: 7E0E4107
	v_add_f32_e64 v4, v4, 1.0                                  // 000000007F44: D1010004 0001E504
	v_add_f32_e64 v5, v5, 1.0                                  // 000000007F4C: D1010005 0001E505
	v_add_f32_e64 v6, v6, 1.0                                  // 000000007F54: D1010006 0001E506
	v_add_f32_e64 v7, v7, 1.0                                  // 000000007F5C: D1010007 0001E507
	v_rcp_f32_e32 v4, v4                                       // 000000007F64: 7E084504
	v_rcp_f32_e32 v5, v5                                       // 000000007F68: 7E0A4505
	v_rcp_f32_e32 v6, v6                                       // 000000007F6C: 7E0C4506
	v_rcp_f32_e32 v7, v7                                       // 000000007F70: 7E0E4507
	v_mul_f32_e32 v152, v152, v4                               // 000000007F74: 0B300998
	v_mul_f32_e32 v153, v153, v5                               // 000000007F78: 0B320B99
	v_mul_f32_e32 v154, v154, v6                               // 000000007F7C: 0B340D9A
	v_mul_f32_e32 v155, v155, v7                               // 000000007F80: 0B360F9B
	v_mul_f32_e32 v152, v152, v224                             // 000000007F84: 0B31C198
	v_mul_f32_e32 v153, v153, v225                             // 000000007F88: 0B33C399
	v_mul_f32_e32 v154, v154, v226                             // 000000007F8C: 0B35C59A
	v_mul_f32_e32 v155, v155, v227                             // 000000007F90: 0B37C79B
	v_mul_f32_e64 v4, -v156, s6                                // 000000007F94: D1050004 20000D9C
	v_mul_f32_e64 v5, -v157, s6                                // 000000007F9C: D1050005 20000D9D
	v_mul_f32_e64 v6, -v158, s6                                // 000000007FA4: D1050006 20000D9E
	v_mul_f32_e64 v7, -v159, s6                                // 000000007FAC: D1050007 20000D9F
	v_exp_f32_e32 v4, v4                                       // 000000007FB4: 7E084104
	v_exp_f32_e32 v5, v5                                       // 000000007FB8: 7E0A4105
	v_exp_f32_e32 v6, v6                                       // 000000007FBC: 7E0C4106
	v_exp_f32_e32 v7, v7                                       // 000000007FC0: 7E0E4107
	v_add_f32_e64 v4, v4, 1.0                                  // 000000007FC4: D1010004 0001E504
	v_add_f32_e64 v5, v5, 1.0                                  // 000000007FCC: D1010005 0001E505
	v_add_f32_e64 v6, v6, 1.0                                  // 000000007FD4: D1010006 0001E506
	v_add_f32_e64 v7, v7, 1.0                                  // 000000007FDC: D1010007 0001E507
	v_rcp_f32_e32 v4, v4                                       // 000000007FE4: 7E084504
	v_rcp_f32_e32 v5, v5                                       // 000000007FE8: 7E0A4505
	v_rcp_f32_e32 v6, v6                                       // 000000007FEC: 7E0C4506
	v_rcp_f32_e32 v7, v7                                       // 000000007FF0: 7E0E4507
	v_mul_f32_e32 v156, v156, v4                               // 000000007FF4: 0B38099C
	v_mul_f32_e32 v157, v157, v5                               // 000000007FF8: 0B3A0B9D
	v_mul_f32_e32 v158, v158, v6                               // 000000007FFC: 0B3C0D9E
	v_mul_f32_e32 v159, v159, v7                               // 000000008000: 0B3E0F9F
	v_mul_f32_e32 v156, v156, v228                             // 000000008004: 0B39C99C
	v_mul_f32_e32 v157, v157, v229                             // 000000008008: 0B3BCB9D
	v_mul_f32_e32 v158, v158, v230                             // 00000000800C: 0B3DCD9E
	v_mul_f32_e32 v159, v159, v231                             // 000000008010: 0B3FCF9F

0000000000008014 <label_1585>:
	v_cmp_u_f32_e64 s[46:47], v88, v88                         // 000000008014: D048002E 0002B158
	v_add3_u32 v16, v88, v19, 1                                // 00000000801C: D1FF0010 02062758
	v_cndmask_b32_e64 v4, v16, v18, s[46:47]                   // 000000008024: D1000004 00BA2510
	v_cmp_u_f32_e64 s[46:47], v89, v89                         // 00000000802C: D048002E 0002B359
	v_add3_u32 v16, v89, v19, 1                                // 000000008034: D1FF0010 02062759
	v_cndmask_b32_e64 v5, v16, v18, s[46:47]                   // 00000000803C: D1000005 00BA2510
	v_perm_b32 v88, v5, v4, s52                                // 000000008044: D1ED0058 00D20905
	v_cmp_u_f32_e64 s[46:47], v90, v90                         // 00000000804C: D048002E 0002B55A
	v_add3_u32 v16, v90, v19, 1                                // 000000008054: D1FF0010 0206275A
	v_cndmask_b32_e64 v4, v16, v18, s[46:47]                   // 00000000805C: D1000004 00BA2510
	v_cmp_u_f32_e64 s[46:47], v91, v91                         // 000000008064: D048002E 0002B75B
	v_add3_u32 v16, v91, v19, 1                                // 00000000806C: D1FF0010 0206275B
	v_cndmask_b32_e64 v5, v16, v18, s[46:47]                   // 000000008074: D1000005 00BA2510
	v_perm_b32 v89, v5, v4, s52                                // 00000000807C: D1ED0059 00D20905
	v_cmp_u_f32_e64 s[46:47], v92, v92                         // 000000008084: D048002E 0002B95C
	v_add3_u32 v16, v92, v19, 1                                // 00000000808C: D1FF0010 0206275C
	v_cndmask_b32_e64 v4, v16, v18, s[46:47]                   // 000000008094: D1000004 00BA2510
	v_cmp_u_f32_e64 s[46:47], v93, v93                         // 00000000809C: D048002E 0002BB5D
	v_add3_u32 v16, v93, v19, 1                                // 0000000080A4: D1FF0010 0206275D
	v_cndmask_b32_e64 v5, v16, v18, s[46:47]                   // 0000000080AC: D1000005 00BA2510
	v_perm_b32 v90, v5, v4, s52                                // 0000000080B4: D1ED005A 00D20905
	v_cmp_u_f32_e64 s[46:47], v94, v94                         // 0000000080BC: D048002E 0002BD5E
	v_add3_u32 v16, v94, v19, 1                                // 0000000080C4: D1FF0010 0206275E
	v_cndmask_b32_e64 v4, v16, v18, s[46:47]                   // 0000000080CC: D1000004 00BA2510
	v_cmp_u_f32_e64 s[46:47], v95, v95                         // 0000000080D4: D048002E 0002BF5F
	v_add3_u32 v16, v95, v19, 1                                // 0000000080DC: D1FF0010 0206275F
	v_cndmask_b32_e64 v5, v16, v18, s[46:47]                   // 0000000080E4: D1000005 00BA2510
	v_perm_b32 v91, v5, v4, s52                                // 0000000080EC: D1ED005B 00D20905
	v_cmp_u_f32_e64 s[46:47], v96, v96                         // 0000000080F4: D048002E 0002C160
	v_add3_u32 v16, v96, v19, 1                                // 0000000080FC: D1FF0010 02062760
	v_cndmask_b32_e64 v4, v16, v18, s[46:47]                   // 000000008104: D1000004 00BA2510
	v_cmp_u_f32_e64 s[46:47], v97, v97                         // 00000000810C: D048002E 0002C361
	v_add3_u32 v16, v97, v19, 1                                // 000000008114: D1FF0010 02062761
	v_cndmask_b32_e64 v5, v16, v18, s[46:47]                   // 00000000811C: D1000005 00BA2510
	v_perm_b32 v92, v5, v4, s52                                // 000000008124: D1ED005C 00D20905
	v_cmp_u_f32_e64 s[46:47], v98, v98                         // 00000000812C: D048002E 0002C562
	v_add3_u32 v16, v98, v19, 1                                // 000000008134: D1FF0010 02062762
	v_cndmask_b32_e64 v4, v16, v18, s[46:47]                   // 00000000813C: D1000004 00BA2510
	v_cmp_u_f32_e64 s[46:47], v99, v99                         // 000000008144: D048002E 0002C763
	v_add3_u32 v16, v99, v19, 1                                // 00000000814C: D1FF0010 02062763
	v_cndmask_b32_e64 v5, v16, v18, s[46:47]                   // 000000008154: D1000005 00BA2510
	v_perm_b32 v93, v5, v4, s52                                // 00000000815C: D1ED005D 00D20905
	v_cmp_u_f32_e64 s[46:47], v100, v100                       // 000000008164: D048002E 0002C964
	v_add3_u32 v16, v100, v19, 1                               // 00000000816C: D1FF0010 02062764
	v_cndmask_b32_e64 v4, v16, v18, s[46:47]                   // 000000008174: D1000004 00BA2510
	v_cmp_u_f32_e64 s[46:47], v101, v101                       // 00000000817C: D048002E 0002CB65
	v_add3_u32 v16, v101, v19, 1                               // 000000008184: D1FF0010 02062765
	v_cndmask_b32_e64 v5, v16, v18, s[46:47]                   // 00000000818C: D1000005 00BA2510
	v_perm_b32 v94, v5, v4, s52                                // 000000008194: D1ED005E 00D20905
	v_cmp_u_f32_e64 s[46:47], v102, v102                       // 00000000819C: D048002E 0002CD66
	v_add3_u32 v16, v102, v19, 1                               // 0000000081A4: D1FF0010 02062766
	v_cndmask_b32_e64 v4, v16, v18, s[46:47]                   // 0000000081AC: D1000004 00BA2510
	v_cmp_u_f32_e64 s[46:47], v103, v103                       // 0000000081B4: D048002E 0002CF67
	v_add3_u32 v16, v103, v19, 1                               // 0000000081BC: D1FF0010 02062767
	v_cndmask_b32_e64 v5, v16, v18, s[46:47]                   // 0000000081C4: D1000005 00BA2510
	v_perm_b32 v95, v5, v4, s52                                // 0000000081CC: D1ED005F 00D20905
	v_cmp_u_f32_e64 s[46:47], v104, v104                       // 0000000081D4: D048002E 0002D168
	v_add3_u32 v16, v104, v19, 1                               // 0000000081DC: D1FF0010 02062768
	v_cndmask_b32_e64 v4, v16, v18, s[46:47]                   // 0000000081E4: D1000004 00BA2510
	v_cmp_u_f32_e64 s[46:47], v105, v105                       // 0000000081EC: D048002E 0002D369
	v_add3_u32 v16, v105, v19, 1                               // 0000000081F4: D1FF0010 02062769
	v_cndmask_b32_e64 v5, v16, v18, s[46:47]                   // 0000000081FC: D1000005 00BA2510
	v_perm_b32 v96, v5, v4, s52                                // 000000008204: D1ED0060 00D20905
	v_cmp_u_f32_e64 s[46:47], v106, v106                       // 00000000820C: D048002E 0002D56A
	v_add3_u32 v16, v106, v19, 1                               // 000000008214: D1FF0010 0206276A
	v_cndmask_b32_e64 v4, v16, v18, s[46:47]                   // 00000000821C: D1000004 00BA2510
	v_cmp_u_f32_e64 s[46:47], v107, v107                       // 000000008224: D048002E 0002D76B
	v_add3_u32 v16, v107, v19, 1                               // 00000000822C: D1FF0010 0206276B
	v_cndmask_b32_e64 v5, v16, v18, s[46:47]                   // 000000008234: D1000005 00BA2510
	v_perm_b32 v97, v5, v4, s52                                // 00000000823C: D1ED0061 00D20905
	v_cmp_u_f32_e64 s[46:47], v108, v108                       // 000000008244: D048002E 0002D96C
	v_add3_u32 v16, v108, v19, 1                               // 00000000824C: D1FF0010 0206276C
	v_cndmask_b32_e64 v4, v16, v18, s[46:47]                   // 000000008254: D1000004 00BA2510
	v_cmp_u_f32_e64 s[46:47], v109, v109                       // 00000000825C: D048002E 0002DB6D
	v_add3_u32 v16, v109, v19, 1                               // 000000008264: D1FF0010 0206276D
	v_cndmask_b32_e64 v5, v16, v18, s[46:47]                   // 00000000826C: D1000005 00BA2510
	v_perm_b32 v98, v5, v4, s52                                // 000000008274: D1ED0062 00D20905
	v_cmp_u_f32_e64 s[46:47], v110, v110                       // 00000000827C: D048002E 0002DD6E
	v_add3_u32 v16, v110, v19, 1                               // 000000008284: D1FF0010 0206276E
	v_cndmask_b32_e64 v4, v16, v18, s[46:47]                   // 00000000828C: D1000004 00BA2510
	v_cmp_u_f32_e64 s[46:47], v111, v111                       // 000000008294: D048002E 0002DF6F
	v_add3_u32 v16, v111, v19, 1                               // 00000000829C: D1FF0010 0206276F
	v_cndmask_b32_e64 v5, v16, v18, s[46:47]                   // 0000000082A4: D1000005 00BA2510
	v_perm_b32 v99, v5, v4, s52                                // 0000000082AC: D1ED0063 00D20905
	v_cmp_u_f32_e64 s[46:47], v112, v112                       // 0000000082B4: D048002E 0002E170
	v_add3_u32 v16, v112, v19, 1                               // 0000000082BC: D1FF0010 02062770
	v_cndmask_b32_e64 v4, v16, v18, s[46:47]                   // 0000000082C4: D1000004 00BA2510
	v_cmp_u_f32_e64 s[46:47], v113, v113                       // 0000000082CC: D048002E 0002E371
	v_add3_u32 v16, v113, v19, 1                               // 0000000082D4: D1FF0010 02062771
	v_cndmask_b32_e64 v5, v16, v18, s[46:47]                   // 0000000082DC: D1000005 00BA2510
	v_perm_b32 v100, v5, v4, s52                               // 0000000082E4: D1ED0064 00D20905
	v_cmp_u_f32_e64 s[46:47], v114, v114                       // 0000000082EC: D048002E 0002E572
	v_add3_u32 v16, v114, v19, 1                               // 0000000082F4: D1FF0010 02062772
	v_cndmask_b32_e64 v4, v16, v18, s[46:47]                   // 0000000082FC: D1000004 00BA2510
	v_cmp_u_f32_e64 s[46:47], v115, v115                       // 000000008304: D048002E 0002E773
	v_add3_u32 v16, v115, v19, 1                               // 00000000830C: D1FF0010 02062773
	v_cndmask_b32_e64 v5, v16, v18, s[46:47]                   // 000000008314: D1000005 00BA2510
	v_perm_b32 v101, v5, v4, s52                               // 00000000831C: D1ED0065 00D20905
	v_cmp_u_f32_e64 s[46:47], v116, v116                       // 000000008324: D048002E 0002E974
	v_add3_u32 v16, v116, v19, 1                               // 00000000832C: D1FF0010 02062774
	v_cndmask_b32_e64 v4, v16, v18, s[46:47]                   // 000000008334: D1000004 00BA2510
	v_cmp_u_f32_e64 s[46:47], v117, v117                       // 00000000833C: D048002E 0002EB75
	v_add3_u32 v16, v117, v19, 1                               // 000000008344: D1FF0010 02062775
	v_cndmask_b32_e64 v5, v16, v18, s[46:47]                   // 00000000834C: D1000005 00BA2510
	v_perm_b32 v102, v5, v4, s52                               // 000000008354: D1ED0066 00D20905
	v_cmp_u_f32_e64 s[46:47], v118, v118                       // 00000000835C: D048002E 0002ED76
	v_add3_u32 v16, v118, v19, 1                               // 000000008364: D1FF0010 02062776
	v_cndmask_b32_e64 v4, v16, v18, s[46:47]                   // 00000000836C: D1000004 00BA2510
	v_cmp_u_f32_e64 s[46:47], v119, v119                       // 000000008374: D048002E 0002EF77
	v_add3_u32 v16, v119, v19, 1                               // 00000000837C: D1FF0010 02062777
	v_cndmask_b32_e64 v5, v16, v18, s[46:47]                   // 000000008384: D1000005 00BA2510
	v_perm_b32 v103, v5, v4, s52                               // 00000000838C: D1ED0067 00D20905
	v_cmp_u_f32_e64 s[46:47], v120, v120                       // 000000008394: D048002E 0002F178
	v_add3_u32 v16, v120, v19, 1                               // 00000000839C: D1FF0010 02062778
	v_cndmask_b32_e64 v4, v16, v18, s[46:47]                   // 0000000083A4: D1000004 00BA2510
	v_cmp_u_f32_e64 s[46:47], v121, v121                       // 0000000083AC: D048002E 0002F379
	v_add3_u32 v16, v121, v19, 1                               // 0000000083B4: D1FF0010 02062779
	v_cndmask_b32_e64 v5, v16, v18, s[46:47]                   // 0000000083BC: D1000005 00BA2510
	v_perm_b32 v104, v5, v4, s52                               // 0000000083C4: D1ED0068 00D20905
	v_cmp_u_f32_e64 s[46:47], v122, v122                       // 0000000083CC: D048002E 0002F57A
	v_add3_u32 v16, v122, v19, 1                               // 0000000083D4: D1FF0010 0206277A
	v_cndmask_b32_e64 v4, v16, v18, s[46:47]                   // 0000000083DC: D1000004 00BA2510
	v_cmp_u_f32_e64 s[46:47], v123, v123                       // 0000000083E4: D048002E 0002F77B
	v_add3_u32 v16, v123, v19, 1                               // 0000000083EC: D1FF0010 0206277B
	v_cndmask_b32_e64 v5, v16, v18, s[46:47]                   // 0000000083F4: D1000005 00BA2510
	v_perm_b32 v105, v5, v4, s52                               // 0000000083FC: D1ED0069 00D20905
	v_cmp_u_f32_e64 s[46:47], v124, v124                       // 000000008404: D048002E 0002F97C
	v_add3_u32 v16, v124, v19, 1                               // 00000000840C: D1FF0010 0206277C
	v_cndmask_b32_e64 v4, v16, v18, s[46:47]                   // 000000008414: D1000004 00BA2510
	v_cmp_u_f32_e64 s[46:47], v125, v125                       // 00000000841C: D048002E 0002FB7D
	v_add3_u32 v16, v125, v19, 1                               // 000000008424: D1FF0010 0206277D
	v_cndmask_b32_e64 v5, v16, v18, s[46:47]                   // 00000000842C: D1000005 00BA2510
	v_perm_b32 v106, v5, v4, s52                               // 000000008434: D1ED006A 00D20905
	v_cmp_u_f32_e64 s[46:47], v126, v126                       // 00000000843C: D048002E 0002FD7E
	v_add3_u32 v16, v126, v19, 1                               // 000000008444: D1FF0010 0206277E
	v_cndmask_b32_e64 v4, v16, v18, s[46:47]                   // 00000000844C: D1000004 00BA2510
	v_cmp_u_f32_e64 s[46:47], v127, v127                       // 000000008454: D048002E 0002FF7F
	v_add3_u32 v16, v127, v19, 1                               // 00000000845C: D1FF0010 0206277F
	v_cndmask_b32_e64 v5, v16, v18, s[46:47]                   // 000000008464: D1000005 00BA2510
	v_perm_b32 v107, v5, v4, s52                               // 00000000846C: D1ED006B 00D20905
	v_cmp_u_f32_e64 s[46:47], v128, v128                       // 000000008474: D048002E 00030180
	v_add3_u32 v16, v128, v19, 1                               // 00000000847C: D1FF0010 02062780
	v_cndmask_b32_e64 v4, v16, v18, s[46:47]                   // 000000008484: D1000004 00BA2510
	v_cmp_u_f32_e64 s[46:47], v129, v129                       // 00000000848C: D048002E 00030381
	v_add3_u32 v16, v129, v19, 1                               // 000000008494: D1FF0010 02062781
	v_cndmask_b32_e64 v5, v16, v18, s[46:47]                   // 00000000849C: D1000005 00BA2510
	v_perm_b32 v108, v5, v4, s52                               // 0000000084A4: D1ED006C 00D20905
	v_cmp_u_f32_e64 s[46:47], v130, v130                       // 0000000084AC: D048002E 00030582
	v_add3_u32 v16, v130, v19, 1                               // 0000000084B4: D1FF0010 02062782
	v_cndmask_b32_e64 v4, v16, v18, s[46:47]                   // 0000000084BC: D1000004 00BA2510
	v_cmp_u_f32_e64 s[46:47], v131, v131                       // 0000000084C4: D048002E 00030783
	v_add3_u32 v16, v131, v19, 1                               // 0000000084CC: D1FF0010 02062783
	v_cndmask_b32_e64 v5, v16, v18, s[46:47]                   // 0000000084D4: D1000005 00BA2510
	v_perm_b32 v109, v5, v4, s52                               // 0000000084DC: D1ED006D 00D20905
	v_cmp_u_f32_e64 s[46:47], v132, v132                       // 0000000084E4: D048002E 00030984
	v_add3_u32 v16, v132, v19, 1                               // 0000000084EC: D1FF0010 02062784
	v_cndmask_b32_e64 v4, v16, v18, s[46:47]                   // 0000000084F4: D1000004 00BA2510
	v_cmp_u_f32_e64 s[46:47], v133, v133                       // 0000000084FC: D048002E 00030B85
	v_add3_u32 v16, v133, v19, 1                               // 000000008504: D1FF0010 02062785
	v_cndmask_b32_e64 v5, v16, v18, s[46:47]                   // 00000000850C: D1000005 00BA2510
	v_perm_b32 v110, v5, v4, s52                               // 000000008514: D1ED006E 00D20905
	v_cmp_u_f32_e64 s[46:47], v134, v134                       // 00000000851C: D048002E 00030D86
	v_add3_u32 v16, v134, v19, 1                               // 000000008524: D1FF0010 02062786
	v_cndmask_b32_e64 v4, v16, v18, s[46:47]                   // 00000000852C: D1000004 00BA2510
	v_cmp_u_f32_e64 s[46:47], v135, v135                       // 000000008534: D048002E 00030F87
	v_add3_u32 v16, v135, v19, 1                               // 00000000853C: D1FF0010 02062787
	v_cndmask_b32_e64 v5, v16, v18, s[46:47]                   // 000000008544: D1000005 00BA2510
	v_perm_b32 v111, v5, v4, s52                               // 00000000854C: D1ED006F 00D20905
	v_cmp_u_f32_e64 s[46:47], v136, v136                       // 000000008554: D048002E 00031188
	v_add3_u32 v16, v136, v19, 1                               // 00000000855C: D1FF0010 02062788
	v_cndmask_b32_e64 v4, v16, v18, s[46:47]                   // 000000008564: D1000004 00BA2510
	v_cmp_u_f32_e64 s[46:47], v137, v137                       // 00000000856C: D048002E 00031389
	v_add3_u32 v16, v137, v19, 1                               // 000000008574: D1FF0010 02062789
	v_cndmask_b32_e64 v5, v16, v18, s[46:47]                   // 00000000857C: D1000005 00BA2510
	v_perm_b32 v112, v5, v4, s52                               // 000000008584: D1ED0070 00D20905
	v_cmp_u_f32_e64 s[46:47], v138, v138                       // 00000000858C: D048002E 0003158A
	v_add3_u32 v16, v138, v19, 1                               // 000000008594: D1FF0010 0206278A
	v_cndmask_b32_e64 v4, v16, v18, s[46:47]                   // 00000000859C: D1000004 00BA2510
	v_cmp_u_f32_e64 s[46:47], v139, v139                       // 0000000085A4: D048002E 0003178B
	v_add3_u32 v16, v139, v19, 1                               // 0000000085AC: D1FF0010 0206278B
	v_cndmask_b32_e64 v5, v16, v18, s[46:47]                   // 0000000085B4: D1000005 00BA2510
	v_perm_b32 v113, v5, v4, s52                               // 0000000085BC: D1ED0071 00D20905
	v_cmp_u_f32_e64 s[46:47], v140, v140                       // 0000000085C4: D048002E 0003198C
	v_add3_u32 v16, v140, v19, 1                               // 0000000085CC: D1FF0010 0206278C
	v_cndmask_b32_e64 v4, v16, v18, s[46:47]                   // 0000000085D4: D1000004 00BA2510
	v_cmp_u_f32_e64 s[46:47], v141, v141                       // 0000000085DC: D048002E 00031B8D
	v_add3_u32 v16, v141, v19, 1                               // 0000000085E4: D1FF0010 0206278D
	v_cndmask_b32_e64 v5, v16, v18, s[46:47]                   // 0000000085EC: D1000005 00BA2510
	v_perm_b32 v114, v5, v4, s52                               // 0000000085F4: D1ED0072 00D20905
	v_cmp_u_f32_e64 s[46:47], v142, v142                       // 0000000085FC: D048002E 00031D8E
	v_add3_u32 v16, v142, v19, 1                               // 000000008604: D1FF0010 0206278E
	v_cndmask_b32_e64 v4, v16, v18, s[46:47]                   // 00000000860C: D1000004 00BA2510
	v_cmp_u_f32_e64 s[46:47], v143, v143                       // 000000008614: D048002E 00031F8F
	v_add3_u32 v16, v143, v19, 1                               // 00000000861C: D1FF0010 0206278F
	v_cndmask_b32_e64 v5, v16, v18, s[46:47]                   // 000000008624: D1000005 00BA2510
	v_perm_b32 v115, v5, v4, s52                               // 00000000862C: D1ED0073 00D20905
	v_cmp_u_f32_e64 s[46:47], v144, v144                       // 000000008634: D048002E 00032190
	v_add3_u32 v16, v144, v19, 1                               // 00000000863C: D1FF0010 02062790
	v_cndmask_b32_e64 v4, v16, v18, s[46:47]                   // 000000008644: D1000004 00BA2510
	v_cmp_u_f32_e64 s[46:47], v145, v145                       // 00000000864C: D048002E 00032391
	v_add3_u32 v16, v145, v19, 1                               // 000000008654: D1FF0010 02062791
	v_cndmask_b32_e64 v5, v16, v18, s[46:47]                   // 00000000865C: D1000005 00BA2510
	v_perm_b32 v116, v5, v4, s52                               // 000000008664: D1ED0074 00D20905
	v_cmp_u_f32_e64 s[46:47], v146, v146                       // 00000000866C: D048002E 00032592
	v_add3_u32 v16, v146, v19, 1                               // 000000008674: D1FF0010 02062792
	v_cndmask_b32_e64 v4, v16, v18, s[46:47]                   // 00000000867C: D1000004 00BA2510
	v_cmp_u_f32_e64 s[46:47], v147, v147                       // 000000008684: D048002E 00032793
	v_add3_u32 v16, v147, v19, 1                               // 00000000868C: D1FF0010 02062793
	v_cndmask_b32_e64 v5, v16, v18, s[46:47]                   // 000000008694: D1000005 00BA2510
	v_perm_b32 v117, v5, v4, s52                               // 00000000869C: D1ED0075 00D20905
	v_cmp_u_f32_e64 s[46:47], v148, v148                       // 0000000086A4: D048002E 00032994
	v_add3_u32 v16, v148, v19, 1                               // 0000000086AC: D1FF0010 02062794
	v_cndmask_b32_e64 v4, v16, v18, s[46:47]                   // 0000000086B4: D1000004 00BA2510
	v_cmp_u_f32_e64 s[46:47], v149, v149                       // 0000000086BC: D048002E 00032B95
	v_add3_u32 v16, v149, v19, 1                               // 0000000086C4: D1FF0010 02062795
	v_cndmask_b32_e64 v5, v16, v18, s[46:47]                   // 0000000086CC: D1000005 00BA2510
	v_perm_b32 v118, v5, v4, s52                               // 0000000086D4: D1ED0076 00D20905
	v_cmp_u_f32_e64 s[46:47], v150, v150                       // 0000000086DC: D048002E 00032D96
	v_add3_u32 v16, v150, v19, 1                               // 0000000086E4: D1FF0010 02062796
	v_cndmask_b32_e64 v4, v16, v18, s[46:47]                   // 0000000086EC: D1000004 00BA2510
	v_cmp_u_f32_e64 s[46:47], v151, v151                       // 0000000086F4: D048002E 00032F97
	v_add3_u32 v16, v151, v19, 1                               // 0000000086FC: D1FF0010 02062797
	v_cndmask_b32_e64 v5, v16, v18, s[46:47]                   // 000000008704: D1000005 00BA2510
	v_perm_b32 v119, v5, v4, s52                               // 00000000870C: D1ED0077 00D20905
	v_cmp_u_f32_e64 s[46:47], v152, v152                       // 000000008714: D048002E 00033198
	v_add3_u32 v16, v152, v19, 1                               // 00000000871C: D1FF0010 02062798
	v_cndmask_b32_e64 v4, v16, v18, s[46:47]                   // 000000008724: D1000004 00BA2510
	v_cmp_u_f32_e64 s[46:47], v153, v153                       // 00000000872C: D048002E 00033399
	v_add3_u32 v16, v153, v19, 1                               // 000000008734: D1FF0010 02062799
	v_cndmask_b32_e64 v5, v16, v18, s[46:47]                   // 00000000873C: D1000005 00BA2510
	v_perm_b32 v120, v5, v4, s52                               // 000000008744: D1ED0078 00D20905
	v_cmp_u_f32_e64 s[46:47], v154, v154                       // 00000000874C: D048002E 0003359A
	v_add3_u32 v16, v154, v19, 1                               // 000000008754: D1FF0010 0206279A
	v_cndmask_b32_e64 v4, v16, v18, s[46:47]                   // 00000000875C: D1000004 00BA2510
	v_cmp_u_f32_e64 s[46:47], v155, v155                       // 000000008764: D048002E 0003379B
	v_add3_u32 v16, v155, v19, 1                               // 00000000876C: D1FF0010 0206279B
	v_cndmask_b32_e64 v5, v16, v18, s[46:47]                   // 000000008774: D1000005 00BA2510
	v_perm_b32 v121, v5, v4, s52                               // 00000000877C: D1ED0079 00D20905
	v_cmp_u_f32_e64 s[46:47], v156, v156                       // 000000008784: D048002E 0003399C
	v_add3_u32 v16, v156, v19, 1                               // 00000000878C: D1FF0010 0206279C
	v_cndmask_b32_e64 v4, v16, v18, s[46:47]                   // 000000008794: D1000004 00BA2510
	v_cmp_u_f32_e64 s[46:47], v157, v157                       // 00000000879C: D048002E 00033B9D
	v_add3_u32 v16, v157, v19, 1                               // 0000000087A4: D1FF0010 0206279D
	v_cndmask_b32_e64 v5, v16, v18, s[46:47]                   // 0000000087AC: D1000005 00BA2510
	v_perm_b32 v122, v5, v4, s52                               // 0000000087B4: D1ED007A 00D20905
	v_cmp_u_f32_e64 s[46:47], v158, v158                       // 0000000087BC: D048002E 00033D9E
	v_add3_u32 v16, v158, v19, 1                               // 0000000087C4: D1FF0010 0206279E
	v_cndmask_b32_e64 v4, v16, v18, s[46:47]                   // 0000000087CC: D1000004 00BA2510
	v_cmp_u_f32_e64 s[46:47], v159, v159                       // 0000000087D4: D048002E 00033F9F
	v_add3_u32 v16, v159, v19, 1                               // 0000000087DC: D1FF0010 0206279F
	v_cndmask_b32_e64 v5, v16, v18, s[46:47]                   // 0000000087E4: D1000005 00BA2510
	v_perm_b32 v123, v5, v4, s52                               // 0000000087EC: D1ED007B 00D20905
	ds_write_b64 v20, v[88:89]                                 // 0000000087F4: D89A0000 00005814
	ds_write_b64 v20, v[90:91] offset:4352                     // 0000000087FC: D89A1100 00005A14
	ds_write_b64 v20, v[92:93] offset:8704                     // 000000008804: D89A2200 00005C14
	ds_write_b64 v20, v[94:95] offset:13056                    // 00000000880C: D89A3300 00005E14
	ds_write_b64 v20, v[96:97] offset:17408                    // 000000008814: D89A4400 00006014
	ds_write_b64 v20, v[98:99] offset:21760                    // 00000000881C: D89A5500 00006214
	ds_write_b64 v20, v[100:101] offset:26112                  // 000000008824: D89A6600 00006414
	ds_write_b64 v20, v[102:103] offset:30464                  // 00000000882C: D89A7700 00006614
	ds_write_b64 v20, v[104:105] offset:34816                  // 000000008834: D89A8800 00006814
	ds_write_b64 v20, v[106:107] offset:2176                   // 00000000883C: D89A0880 00006A14
	ds_write_b64 v20, v[108:109] offset:6528                   // 000000008844: D89A1980 00006C14
	ds_write_b64 v20, v[110:111] offset:10880                  // 00000000884C: D89A2A80 00006E14
	ds_write_b64 v20, v[112:113] offset:15232                  // 000000008854: D89A3B80 00007014
	ds_write_b64 v20, v[114:115] offset:19584                  // 00000000885C: D89A4C80 00007214
	ds_write_b64 v20, v[116:117] offset:23936                  // 000000008864: D89A5D80 00007414
	ds_write_b64 v20, v[118:119] offset:28288                  // 00000000886C: D89A6E80 00007614
	ds_write_b64 v20, v[120:121] offset:32640                  // 000000008874: D89A7F80 00007814
	ds_write_b64 v20, v[122:123] offset:36992                  // 00000000887C: D89A9080 00007A14
	v_lshrrev_b32_e32 v4, 5, v0                                // 000000008884: 20080085
	v_xor_b32_e32 v5, 1, v4                                    // 000000008888: 2A0A0881
	s_mul_i32 s60, s65, 2                                      // 00000000888C: 923C8241
	s_cmp_eq_u32 s88, 0                                        // 000000008890: BF068058
	s_cselect_b32 s61, 1, 4                                    // 000000008894: 853D8481
	s_mul_i32 s60, s61, s60                                    // 000000008898: 923C3C3D
	v_readlane_b32 s82, v3, 0                                  // 00000000889C: D2890052 00010103
	s_lshr_b32 s61, s82, 24                                    // 0000000088A4: 8F3D9852
	s_and_b32 s82, s82, 0xffffff                               // 0000000088A8: 8652FF52 00FFFFFF
	s_mul_i32 s82, s82, s71                                    // 0000000088B0: 92524752
	s_mul_i32 s61, s60, s61                                    // 0000000088B4: 923D3D3C
	s_add_u32 s82, s82, s61                                    // 0000000088B8: 80523D52
	v_mul_lo_u32 v6, v5, s82                                   // 0000000088BC: D2850006 0000A505
	v_readlane_b32 s82, v3, 1                                  // 0000000088C4: D2890052 00010303
	s_lshr_b32 s61, s82, 24                                    // 0000000088CC: 8F3D9852
	s_and_b32 s82, s82, 0xffffff                               // 0000000088D0: 8652FF52 00FFFFFF
	s_mul_i32 s82, s82, s71                                    // 0000000088D8: 92524752
	s_mul_i32 s61, s60, s61                                    // 0000000088DC: 923D3D3C
	s_add_u32 s82, s82, s61                                    // 0000000088E0: 80523D52
	v_mul_lo_u32 v7, v4, s82                                   // 0000000088E4: D2850007 0000A504
	v_add_u32_e32 v66, v6, v7                                  // 0000000088EC: 68840F06
	v_readlane_b32 s82, v3, 2                                  // 0000000088F0: D2890052 00010503
	s_lshr_b32 s61, s82, 24                                    // 0000000088F8: 8F3D9852
	s_and_b32 s82, s82, 0xffffff                               // 0000000088FC: 8652FF52 00FFFFFF
	s_mul_i32 s82, s82, s71                                    // 000000008904: 92524752
	s_mul_i32 s61, s60, s61                                    // 000000008908: 923D3D3C
	s_add_u32 s82, s82, s61                                    // 00000000890C: 80523D52
	v_mul_lo_u32 v6, v5, s82                                   // 000000008910: D2850006 0000A505
	v_readlane_b32 s82, v3, 3                                  // 000000008918: D2890052 00010703
	s_lshr_b32 s61, s82, 24                                    // 000000008920: 8F3D9852
	s_and_b32 s82, s82, 0xffffff                               // 000000008924: 8652FF52 00FFFFFF
	s_mul_i32 s82, s82, s71                                    // 00000000892C: 92524752
	s_mul_i32 s61, s60, s61                                    // 000000008930: 923D3D3C
	s_add_u32 s82, s82, s61                                    // 000000008934: 80523D52
	v_mul_lo_u32 v7, v4, s82                                   // 000000008938: D2850007 0000A504
	v_add_u32_e32 v67, v6, v7                                  // 000000008940: 68860F06
	v_readlane_b32 s82, v3, 4                                  // 000000008944: D2890052 00010903
	s_lshr_b32 s61, s82, 24                                    // 00000000894C: 8F3D9852
	s_and_b32 s82, s82, 0xffffff                               // 000000008950: 8652FF52 00FFFFFF
	s_mul_i32 s82, s82, s71                                    // 000000008958: 92524752
	s_mul_i32 s61, s60, s61                                    // 00000000895C: 923D3D3C
	s_add_u32 s82, s82, s61                                    // 000000008960: 80523D52
	v_mul_lo_u32 v6, v5, s82                                   // 000000008964: D2850006 0000A505
	v_readlane_b32 s82, v3, 5                                  // 00000000896C: D2890052 00010B03
	s_lshr_b32 s61, s82, 24                                    // 000000008974: 8F3D9852
	s_and_b32 s82, s82, 0xffffff                               // 000000008978: 8652FF52 00FFFFFF
	s_mul_i32 s82, s82, s71                                    // 000000008980: 92524752
	s_mul_i32 s61, s60, s61                                    // 000000008984: 923D3D3C
	s_add_u32 s82, s82, s61                                    // 000000008988: 80523D52
	v_mul_lo_u32 v7, v4, s82                                   // 00000000898C: D2850007 0000A504
	v_add_u32_e32 v68, v6, v7                                  // 000000008994: 68880F06
	v_readlane_b32 s82, v3, 6                                  // 000000008998: D2890052 00010D03
	s_lshr_b32 s61, s82, 24                                    // 0000000089A0: 8F3D9852
	s_and_b32 s82, s82, 0xffffff                               // 0000000089A4: 8652FF52 00FFFFFF
	s_mul_i32 s82, s82, s71                                    // 0000000089AC: 92524752
	s_mul_i32 s61, s60, s61                                    // 0000000089B0: 923D3D3C
	s_add_u32 s82, s82, s61                                    // 0000000089B4: 80523D52
	v_mul_lo_u32 v6, v5, s82                                   // 0000000089B8: D2850006 0000A505
	v_readlane_b32 s82, v3, 7                                  // 0000000089C0: D2890052 00010F03
	s_lshr_b32 s61, s82, 24                                    // 0000000089C8: 8F3D9852
	s_and_b32 s82, s82, 0xffffff                               // 0000000089CC: 8652FF52 00FFFFFF
	s_mul_i32 s82, s82, s71                                    // 0000000089D4: 92524752
	s_mul_i32 s61, s60, s61                                    // 0000000089D8: 923D3D3C
	s_add_u32 s82, s82, s61                                    // 0000000089DC: 80523D52
	v_mul_lo_u32 v7, v4, s82                                   // 0000000089E0: D2850007 0000A504
	v_add_u32_e32 v69, v6, v7                                  // 0000000089E8: 688A0F06
	v_readlane_b32 s82, v3, 8                                  // 0000000089EC: D2890052 00011103
	s_lshr_b32 s61, s82, 24                                    // 0000000089F4: 8F3D9852
	s_and_b32 s82, s82, 0xffffff                               // 0000000089F8: 8652FF52 00FFFFFF
	s_mul_i32 s82, s82, s71                                    // 000000008A00: 92524752
	s_mul_i32 s61, s60, s61                                    // 000000008A04: 923D3D3C
	s_add_u32 s82, s82, s61                                    // 000000008A08: 80523D52
	v_mul_lo_u32 v6, v5, s82                                   // 000000008A0C: D2850006 0000A505
	v_readlane_b32 s82, v3, 9                                  // 000000008A14: D2890052 00011303
	s_lshr_b32 s61, s82, 24                                    // 000000008A1C: 8F3D9852
	s_and_b32 s82, s82, 0xffffff                               // 000000008A20: 8652FF52 00FFFFFF
	s_mul_i32 s82, s82, s71                                    // 000000008A28: 92524752
	s_mul_i32 s61, s60, s61                                    // 000000008A2C: 923D3D3C
	s_add_u32 s82, s82, s61                                    // 000000008A30: 80523D52
	v_mul_lo_u32 v7, v4, s82                                   // 000000008A34: D2850007 0000A504
	v_add_u32_e32 v70, v6, v7                                  // 000000008A3C: 688C0F06
	v_readlane_b32 s82, v3, 10                                 // 000000008A40: D2890052 00011503
	s_lshr_b32 s61, s82, 24                                    // 000000008A48: 8F3D9852
	s_and_b32 s82, s82, 0xffffff                               // 000000008A4C: 8652FF52 00FFFFFF
	s_mul_i32 s82, s82, s71                                    // 000000008A54: 92524752
	s_mul_i32 s61, s60, s61                                    // 000000008A58: 923D3D3C
	s_add_u32 s82, s82, s61                                    // 000000008A5C: 80523D52
	v_mul_lo_u32 v6, v5, s82                                   // 000000008A60: D2850006 0000A505
	v_readlane_b32 s82, v3, 11                                 // 000000008A68: D2890052 00011703
	s_lshr_b32 s61, s82, 24                                    // 000000008A70: 8F3D9852
	s_and_b32 s82, s82, 0xffffff                               // 000000008A74: 8652FF52 00FFFFFF
	s_mul_i32 s82, s82, s71                                    // 000000008A7C: 92524752
	s_mul_i32 s61, s60, s61                                    // 000000008A80: 923D3D3C
	s_add_u32 s82, s82, s61                                    // 000000008A84: 80523D52
	v_mul_lo_u32 v7, v4, s82                                   // 000000008A88: D2850007 0000A504
	v_add_u32_e32 v71, v6, v7                                  // 000000008A90: 688E0F06
	v_readlane_b32 s82, v3, 12                                 // 000000008A94: D2890052 00011903
	s_lshr_b32 s61, s82, 24                                    // 000000008A9C: 8F3D9852
	s_and_b32 s82, s82, 0xffffff                               // 000000008AA0: 8652FF52 00FFFFFF
	s_mul_i32 s82, s82, s71                                    // 000000008AA8: 92524752
	s_mul_i32 s61, s60, s61                                    // 000000008AAC: 923D3D3C
	s_add_u32 s82, s82, s61                                    // 000000008AB0: 80523D52
	v_mul_lo_u32 v6, v5, s82                                   // 000000008AB4: D2850006 0000A505
	v_readlane_b32 s82, v3, 13                                 // 000000008ABC: D2890052 00011B03
	s_lshr_b32 s61, s82, 24                                    // 000000008AC4: 8F3D9852
	s_and_b32 s82, s82, 0xffffff                               // 000000008AC8: 8652FF52 00FFFFFF
	s_mul_i32 s82, s82, s71                                    // 000000008AD0: 92524752
	s_mul_i32 s61, s60, s61                                    // 000000008AD4: 923D3D3C
	s_add_u32 s82, s82, s61                                    // 000000008AD8: 80523D52
	v_mul_lo_u32 v7, v4, s82                                   // 000000008ADC: D2850007 0000A504
	v_add_u32_e32 v72, v6, v7                                  // 000000008AE4: 68900F06
	v_readlane_b32 s82, v3, 14                                 // 000000008AE8: D2890052 00011D03
	s_lshr_b32 s61, s82, 24                                    // 000000008AF0: 8F3D9852
	s_and_b32 s82, s82, 0xffffff                               // 000000008AF4: 8652FF52 00FFFFFF
	s_mul_i32 s82, s82, s71                                    // 000000008AFC: 92524752
	s_mul_i32 s61, s60, s61                                    // 000000008B00: 923D3D3C
	s_add_u32 s82, s82, s61                                    // 000000008B04: 80523D52
	v_mul_lo_u32 v6, v5, s82                                   // 000000008B08: D2850006 0000A505
	v_readlane_b32 s82, v3, 15                                 // 000000008B10: D2890052 00011F03
	s_lshr_b32 s61, s82, 24                                    // 000000008B18: 8F3D9852
	s_and_b32 s82, s82, 0xffffff                               // 000000008B1C: 8652FF52 00FFFFFF
	s_mul_i32 s82, s82, s71                                    // 000000008B24: 92524752
	s_mul_i32 s61, s60, s61                                    // 000000008B28: 923D3D3C
	s_add_u32 s82, s82, s61                                    // 000000008B2C: 80523D52
	v_mul_lo_u32 v7, v4, s82                                   // 000000008B30: D2850007 0000A504
	v_add_u32_e32 v73, v6, v7                                  // 000000008B38: 68920F06
	v_readlane_b32 s82, v3, 16                                 // 000000008B3C: D2890052 00012103
	s_lshr_b32 s61, s82, 24                                    // 000000008B44: 8F3D9852
	s_and_b32 s82, s82, 0xffffff                               // 000000008B48: 8652FF52 00FFFFFF
	s_mul_i32 s82, s82, s71                                    // 000000008B50: 92524752
	s_mul_i32 s61, s60, s61                                    // 000000008B54: 923D3D3C
	s_add_u32 s82, s82, s61                                    // 000000008B58: 80523D52
	v_mul_lo_u32 v6, v5, s82                                   // 000000008B5C: D2850006 0000A505
	v_readlane_b32 s82, v3, 17                                 // 000000008B64: D2890052 00012303
	s_lshr_b32 s61, s82, 24                                    // 000000008B6C: 8F3D9852
	s_and_b32 s82, s82, 0xffffff                               // 000000008B70: 8652FF52 00FFFFFF
	s_mul_i32 s82, s82, s71                                    // 000000008B78: 92524752
	s_mul_i32 s61, s60, s61                                    // 000000008B7C: 923D3D3C
	s_add_u32 s82, s82, s61                                    // 000000008B80: 80523D52
	v_mul_lo_u32 v7, v4, s82                                   // 000000008B84: D2850007 0000A504
	v_add_u32_e32 v74, v6, v7                                  // 000000008B8C: 68940F06
	v_readlane_b32 s82, v3, 18                                 // 000000008B90: D2890052 00012503
	s_lshr_b32 s61, s82, 24                                    // 000000008B98: 8F3D9852
	s_and_b32 s82, s82, 0xffffff                               // 000000008B9C: 8652FF52 00FFFFFF
	s_mul_i32 s82, s82, s71                                    // 000000008BA4: 92524752
	s_mul_i32 s61, s60, s61                                    // 000000008BA8: 923D3D3C
	s_add_u32 s82, s82, s61                                    // 000000008BAC: 80523D52
	v_mul_lo_u32 v6, v5, s82                                   // 000000008BB0: D2850006 0000A505
	v_readlane_b32 s82, v3, 19                                 // 000000008BB8: D2890052 00012703
	s_lshr_b32 s61, s82, 24                                    // 000000008BC0: 8F3D9852
	s_and_b32 s82, s82, 0xffffff                               // 000000008BC4: 8652FF52 00FFFFFF
	s_mul_i32 s82, s82, s71                                    // 000000008BCC: 92524752
	s_mul_i32 s61, s60, s61                                    // 000000008BD0: 923D3D3C
	s_add_u32 s82, s82, s61                                    // 000000008BD4: 80523D52
	v_mul_lo_u32 v7, v4, s82                                   // 000000008BD8: D2850007 0000A504
	v_add_u32_e32 v75, v6, v7                                  // 000000008BE0: 68960F06
	v_readlane_b32 s82, v3, 20                                 // 000000008BE4: D2890052 00012903
	s_lshr_b32 s61, s82, 24                                    // 000000008BEC: 8F3D9852
	s_and_b32 s82, s82, 0xffffff                               // 000000008BF0: 8652FF52 00FFFFFF
	s_mul_i32 s82, s82, s71                                    // 000000008BF8: 92524752
	s_mul_i32 s61, s60, s61                                    // 000000008BFC: 923D3D3C
	s_add_u32 s82, s82, s61                                    // 000000008C00: 80523D52
	v_mul_lo_u32 v6, v5, s82                                   // 000000008C04: D2850006 0000A505
	v_readlane_b32 s82, v3, 21                                 // 000000008C0C: D2890052 00012B03
	s_lshr_b32 s61, s82, 24                                    // 000000008C14: 8F3D9852
	s_and_b32 s82, s82, 0xffffff                               // 000000008C18: 8652FF52 00FFFFFF
	s_mul_i32 s82, s82, s71                                    // 000000008C20: 92524752
	s_mul_i32 s61, s60, s61                                    // 000000008C24: 923D3D3C
	s_add_u32 s82, s82, s61                                    // 000000008C28: 80523D52
	v_mul_lo_u32 v7, v4, s82                                   // 000000008C2C: D2850007 0000A504
	v_add_u32_e32 v76, v6, v7                                  // 000000008C34: 68980F06
	v_readlane_b32 s82, v3, 22                                 // 000000008C38: D2890052 00012D03
	s_lshr_b32 s61, s82, 24                                    // 000000008C40: 8F3D9852
	s_and_b32 s82, s82, 0xffffff                               // 000000008C44: 8652FF52 00FFFFFF
	s_mul_i32 s82, s82, s71                                    // 000000008C4C: 92524752
	s_mul_i32 s61, s60, s61                                    // 000000008C50: 923D3D3C
	s_add_u32 s82, s82, s61                                    // 000000008C54: 80523D52
	v_mul_lo_u32 v6, v5, s82                                   // 000000008C58: D2850006 0000A505
	v_readlane_b32 s82, v3, 23                                 // 000000008C60: D2890052 00012F03
	s_lshr_b32 s61, s82, 24                                    // 000000008C68: 8F3D9852
	s_and_b32 s82, s82, 0xffffff                               // 000000008C6C: 8652FF52 00FFFFFF
	s_mul_i32 s82, s82, s71                                    // 000000008C74: 92524752
	s_mul_i32 s61, s60, s61                                    // 000000008C78: 923D3D3C
	s_add_u32 s82, s82, s61                                    // 000000008C7C: 80523D52
	v_mul_lo_u32 v7, v4, s82                                   // 000000008C80: D2850007 0000A504
	v_add_u32_e32 v77, v6, v7                                  // 000000008C88: 689A0F06
	v_readlane_b32 s82, v3, 24                                 // 000000008C8C: D2890052 00013103
	s_lshr_b32 s61, s82, 24                                    // 000000008C94: 8F3D9852
	s_and_b32 s82, s82, 0xffffff                               // 000000008C98: 8652FF52 00FFFFFF
	s_mul_i32 s82, s82, s71                                    // 000000008CA0: 92524752
	s_mul_i32 s61, s60, s61                                    // 000000008CA4: 923D3D3C
	s_add_u32 s82, s82, s61                                    // 000000008CA8: 80523D52
	v_mul_lo_u32 v6, v5, s82                                   // 000000008CAC: D2850006 0000A505
	v_readlane_b32 s82, v3, 25                                 // 000000008CB4: D2890052 00013303
	s_lshr_b32 s61, s82, 24                                    // 000000008CBC: 8F3D9852
	s_and_b32 s82, s82, 0xffffff                               // 000000008CC0: 8652FF52 00FFFFFF
	s_mul_i32 s82, s82, s71                                    // 000000008CC8: 92524752
	s_mul_i32 s61, s60, s61                                    // 000000008CCC: 923D3D3C
	s_add_u32 s82, s82, s61                                    // 000000008CD0: 80523D52
	v_mul_lo_u32 v7, v4, s82                                   // 000000008CD4: D2850007 0000A504
	v_add_u32_e32 v78, v6, v7                                  // 000000008CDC: 689C0F06
	v_readlane_b32 s82, v3, 26                                 // 000000008CE0: D2890052 00013503
	s_lshr_b32 s61, s82, 24                                    // 000000008CE8: 8F3D9852
	s_and_b32 s82, s82, 0xffffff                               // 000000008CEC: 8652FF52 00FFFFFF
	s_mul_i32 s82, s82, s71                                    // 000000008CF4: 92524752
	s_mul_i32 s61, s60, s61                                    // 000000008CF8: 923D3D3C
	s_add_u32 s82, s82, s61                                    // 000000008CFC: 80523D52
	v_mul_lo_u32 v6, v5, s82                                   // 000000008D00: D2850006 0000A505
	v_readlane_b32 s82, v3, 27                                 // 000000008D08: D2890052 00013703
	s_lshr_b32 s61, s82, 24                                    // 000000008D10: 8F3D9852
	s_and_b32 s82, s82, 0xffffff                               // 000000008D14: 8652FF52 00FFFFFF
	s_mul_i32 s82, s82, s71                                    // 000000008D1C: 92524752
	s_mul_i32 s61, s60, s61                                    // 000000008D20: 923D3D3C
	s_add_u32 s82, s82, s61                                    // 000000008D24: 80523D52
	v_mul_lo_u32 v7, v4, s82                                   // 000000008D28: D2850007 0000A504
	v_add_u32_e32 v79, v6, v7                                  // 000000008D30: 689E0F06
	v_readlane_b32 s82, v3, 28                                 // 000000008D34: D2890052 00013903
	s_lshr_b32 s61, s82, 24                                    // 000000008D3C: 8F3D9852
	s_and_b32 s82, s82, 0xffffff                               // 000000008D40: 8652FF52 00FFFFFF
	s_mul_i32 s82, s82, s71                                    // 000000008D48: 92524752
	s_mul_i32 s61, s60, s61                                    // 000000008D4C: 923D3D3C
	s_add_u32 s82, s82, s61                                    // 000000008D50: 80523D52
	v_mul_lo_u32 v6, v5, s82                                   // 000000008D54: D2850006 0000A505
	v_readlane_b32 s82, v3, 29                                 // 000000008D5C: D2890052 00013B03
	s_lshr_b32 s61, s82, 24                                    // 000000008D64: 8F3D9852
	s_and_b32 s82, s82, 0xffffff                               // 000000008D68: 8652FF52 00FFFFFF
	s_mul_i32 s82, s82, s71                                    // 000000008D70: 92524752
	s_mul_i32 s61, s60, s61                                    // 000000008D74: 923D3D3C
	s_add_u32 s82, s82, s61                                    // 000000008D78: 80523D52
	v_mul_lo_u32 v7, v4, s82                                   // 000000008D7C: D2850007 0000A504
	v_add_u32_e32 v80, v6, v7                                  // 000000008D84: 68A00F06
	v_readlane_b32 s82, v3, 30                                 // 000000008D88: D2890052 00013D03
	s_lshr_b32 s61, s82, 24                                    // 000000008D90: 8F3D9852
	s_and_b32 s82, s82, 0xffffff                               // 000000008D94: 8652FF52 00FFFFFF
	s_mul_i32 s82, s82, s71                                    // 000000008D9C: 92524752
	s_mul_i32 s61, s60, s61                                    // 000000008DA0: 923D3D3C
	s_add_u32 s82, s82, s61                                    // 000000008DA4: 80523D52
	v_mul_lo_u32 v6, v5, s82                                   // 000000008DA8: D2850006 0000A505
	v_readlane_b32 s82, v3, 31                                 // 000000008DB0: D2890052 00013F03
	s_lshr_b32 s61, s82, 24                                    // 000000008DB8: 8F3D9852
	s_and_b32 s82, s82, 0xffffff                               // 000000008DBC: 8652FF52 00FFFFFF
	s_mul_i32 s82, s82, s71                                    // 000000008DC4: 92524752
	s_mul_i32 s61, s60, s61                                    // 000000008DC8: 923D3D3C
	s_add_u32 s82, s82, s61                                    // 000000008DCC: 80523D52
	v_mul_lo_u32 v7, v4, s82                                   // 000000008DD0: D2850007 0000A504
	v_add_u32_e32 v81, v6, v7                                  // 000000008DD8: 68A20F06
	v_readlane_b32 s82, v3, 32                                 // 000000008DDC: D2890052 00014103
	s_lshr_b32 s61, s82, 24                                    // 000000008DE4: 8F3D9852
	s_and_b32 s82, s82, 0xffffff                               // 000000008DE8: 8652FF52 00FFFFFF
	s_mul_i32 s82, s82, s71                                    // 000000008DF0: 92524752
	s_mul_i32 s61, s60, s61                                    // 000000008DF4: 923D3D3C
	s_add_u32 s82, s82, s61                                    // 000000008DF8: 80523D52
	v_mul_lo_u32 v6, v5, s82                                   // 000000008DFC: D2850006 0000A505
	v_readlane_b32 s82, v3, 33                                 // 000000008E04: D2890052 00014303
	s_lshr_b32 s61, s82, 24                                    // 000000008E0C: 8F3D9852
	s_and_b32 s82, s82, 0xffffff                               // 000000008E10: 8652FF52 00FFFFFF
	s_mul_i32 s82, s82, s71                                    // 000000008E18: 92524752
	s_mul_i32 s61, s60, s61                                    // 000000008E1C: 923D3D3C
	s_add_u32 s82, s82, s61                                    // 000000008E20: 80523D52
	v_mul_lo_u32 v7, v4, s82                                   // 000000008E24: D2850007 0000A504
	v_add_u32_e32 v82, v6, v7                                  // 000000008E2C: 68A40F06
	v_readlane_b32 s82, v3, 34                                 // 000000008E30: D2890052 00014503
	s_lshr_b32 s61, s82, 24                                    // 000000008E38: 8F3D9852
	s_and_b32 s82, s82, 0xffffff                               // 000000008E3C: 8652FF52 00FFFFFF
	s_mul_i32 s82, s82, s71                                    // 000000008E44: 92524752
	s_mul_i32 s61, s60, s61                                    // 000000008E48: 923D3D3C
	s_add_u32 s82, s82, s61                                    // 000000008E4C: 80523D52
	v_mul_lo_u32 v6, v5, s82                                   // 000000008E50: D2850006 0000A505
	v_readlane_b32 s82, v3, 35                                 // 000000008E58: D2890052 00014703
	s_lshr_b32 s61, s82, 24                                    // 000000008E60: 8F3D9852
	s_and_b32 s82, s82, 0xffffff                               // 000000008E64: 8652FF52 00FFFFFF
	s_mul_i32 s82, s82, s71                                    // 000000008E6C: 92524752
	s_mul_i32 s61, s60, s61                                    // 000000008E70: 923D3D3C
	s_add_u32 s82, s82, s61                                    // 000000008E74: 80523D52
	v_mul_lo_u32 v7, v4, s82                                   // 000000008E78: D2850007 0000A504
	v_add_u32_e32 v83, v6, v7                                  // 000000008E80: 68A60F06
	v_and_b32_e32 v4, 31, v0                                   // 000000008E84: 2608009F
	v_lshrrev_b32_e32 v4, 1, v4                                // 000000008E88: 20080881
	s_cmp_eq_u32 s88, 0                                        // 000000008E8C: BF068058
	s_cselect_b32 s61, 2, 4                                    // 000000008E90: 853D8482
	v_mul_lo_u32 v4, v4, s61                                   // 000000008E94: D2850004 00007B04
	v_and_b32_e64 v5, v0, 1                                    // 000000008E9C: D1130005 00010300
	v_add_u32_e32 v4, v4, v5                                   // 000000008EA4: 68080B04
	v_lshlrev_b32_e32 v4, 2, v4                                // 000000008EA8: 24080882
	v_add_u32_e32 v66, v66, v4                                 // 000000008EAC: 68840942
	v_add_u32_e32 v67, v67, v4                                 // 000000008EB0: 68860943
	v_add_u32_e32 v68, v68, v4                                 // 000000008EB4: 68880944
	v_add_u32_e32 v69, v69, v4                                 // 000000008EB8: 688A0945
	v_add_u32_e32 v70, v70, v4                                 // 000000008EBC: 688C0946
	v_add_u32_e32 v71, v71, v4                                 // 000000008EC0: 688E0947
	v_add_u32_e32 v72, v72, v4                                 // 000000008EC4: 68900948
	v_add_u32_e32 v73, v73, v4                                 // 000000008EC8: 68920949
	v_add_u32_e32 v74, v74, v4                                 // 000000008ECC: 6894094A
	v_add_u32_e32 v75, v75, v4                                 // 000000008ED0: 6896094B
	v_add_u32_e32 v76, v76, v4                                 // 000000008ED4: 6898094C
	v_add_u32_e32 v77, v77, v4                                 // 000000008ED8: 689A094D
	v_add_u32_e32 v78, v78, v4                                 // 000000008EDC: 689C094E
	v_add_u32_e32 v79, v79, v4                                 // 000000008EE0: 689E094F
	v_add_u32_e32 v80, v80, v4                                 // 000000008EE4: 68A00950
	v_add_u32_e32 v81, v81, v4                                 // 000000008EE8: 68A20951
	v_add_u32_e32 v82, v82, v4                                 // 000000008EEC: 68A40952
	v_add_u32_e32 v83, v83, v4                                 // 000000008EF0: 68A60953
	s_waitcnt lgkmcnt(0)                                       // 000000008EF4: BF8CC07F
	s_barrier                                                  // 000000008EF8: BF8A0000
	ds_read_b32 v88, v21                                       // 000000008EFC: D86C0000 58000015
	ds_read_b32 v89, v21 offset:64                             // 000000008F04: D86C0040 59000015
	ds_read_b32 v90, v21 offset:2176                           // 000000008F0C: D86C0880 5A000015
	ds_read_b32 v91, v21 offset:2240                           // 000000008F14: D86C08C0 5B000015
	ds_read_b32 v92, v21 offset:4352                           // 000000008F1C: D86C1100 5C000015
	ds_read_b32 v93, v21 offset:4416                           // 000000008F24: D86C1140 5D000015
	ds_read_b32 v94, v21 offset:6528                           // 000000008F2C: D86C1980 5E000015
	ds_read_b32 v95, v21 offset:6592                           // 000000008F34: D86C19C0 5F000015
	ds_read_b32 v96, v21 offset:8704                           // 000000008F3C: D86C2200 60000015
	ds_read_b32 v97, v21 offset:8768                           // 000000008F44: D86C2240 61000015
	ds_read_b32 v98, v21 offset:10880                          // 000000008F4C: D86C2A80 62000015
	ds_read_b32 v99, v21 offset:10944                          // 000000008F54: D86C2AC0 63000015
	ds_read_b32 v100, v21 offset:13056                         // 000000008F5C: D86C3300 64000015
	ds_read_b32 v101, v21 offset:13120                         // 000000008F64: D86C3340 65000015
	ds_read_b32 v102, v21 offset:15232                         // 000000008F6C: D86C3B80 66000015
	ds_read_b32 v103, v21 offset:15296                         // 000000008F74: D86C3BC0 67000015
	ds_read_b32 v104, v21 offset:17408                         // 000000008F7C: D86C4400 68000015
	ds_read_b32 v105, v21 offset:17472                         // 000000008F84: D86C4440 69000015
	ds_read_b32 v106, v21 offset:19584                         // 000000008F8C: D86C4C80 6A000015
	ds_read_b32 v107, v21 offset:19648                         // 000000008F94: D86C4CC0 6B000015
	ds_read_b32 v108, v21 offset:21760                         // 000000008F9C: D86C5500 6C000015
	ds_read_b32 v109, v21 offset:21824                         // 000000008FA4: D86C5540 6D000015
	ds_read_b32 v110, v21 offset:23936                         // 000000008FAC: D86C5D80 6E000015
	ds_read_b32 v111, v21 offset:24000                         // 000000008FB4: D86C5DC0 6F000015
	ds_read_b32 v112, v21 offset:26112                         // 000000008FBC: D86C6600 70000015
	ds_read_b32 v113, v21 offset:26176                         // 000000008FC4: D86C6640 71000015
	ds_read_b32 v114, v21 offset:28288                         // 000000008FCC: D86C6E80 72000015
	ds_read_b32 v115, v21 offset:28352                         // 000000008FD4: D86C6EC0 73000015
	ds_read_b32 v116, v21 offset:30464                         // 000000008FDC: D86C7700 74000015
	ds_read_b32 v117, v21 offset:30528                         // 000000008FE4: D86C7740 75000015
	ds_read_b32 v118, v21 offset:32640                         // 000000008FEC: D86C7F80 76000015
	ds_read_b32 v119, v21 offset:32704                         // 000000008FF4: D86C7FC0 77000015
	ds_read_b32 v120, v21 offset:34816                         // 000000008FFC: D86C8800 78000015
	ds_read_b32 v121, v21 offset:34880                         // 000000009004: D86C8840 79000015
	ds_read_b32 v122, v21 offset:36992                         // 00000000900C: D86C9080 7A000015
	ds_read_b32 v123, v21 offset:37056                         // 000000009014: D86C90C0 7B000015
	s_waitcnt lgkmcnt(0)                                       // 00000000901C: BF8CC07F
	s_mov_b32 s36, -1                                          // 000000009020: BEA400C1
	s_mov_b32 s37, -1                                          // 000000009024: BEA500C1
	v_mov_b32_e32 v7, 0                                        // 000000009028: 7E0E0280
	s_or_b32 s9, s9, 0x40000                                   // 00000000902C: 8709FF09 00040000
	s_mov_b64 exec, s[36:37]                                   // 000000009034: BEFE0124
	v_mov_b32_e32 v6, v66                                      // 000000009038: 7E0C0342
	s_mov_b64 s[60:61], 0                                      // 00000000903C: BEBC0180
	v_readlane_b32 s82, v3, 0                                  // 000000009040: D2890052 00010103
	s_and_b32 s82, s82, 0xffffff                               // 000000009048: 8652FF52 00FFFFFF
	s_cmp_lt_u32 s82, s66                                      // 000000009050: BF0A4252
	s_cselect_b32 s20, s36, s60                                // 000000009054: 85143C24
	v_readlane_b32 s82, v3, 1                                  // 000000009058: D2890052 00010303
	s_and_b32 s82, s82, 0xffffff                               // 000000009060: 8652FF52 00FFFFFF
	s_cmp_lt_u32 s82, s66                                      // 000000009068: BF0A4252
	s_cselect_b32 s21, s36, s60                                // 00000000906C: 85153C24
	s_mov_b64 exec, s[20:21]                                   // 000000009070: BEFE0114
	buffer_store_dword v88, v6, s[8:11], 0 offen               // 000000009074: E0701000 80025806
	buffer_store_dword v90, v6, s[8:11], 0 offen offset:128    // 00000000907C: E0701080 80025A06
	s_mov_b64 exec, s[36:37]                                   // 000000009084: BEFE0124
	v_mov_b32_e32 v6, v67                                      // 000000009088: 7E0C0343
	s_mov_b64 s[60:61], 0                                      // 00000000908C: BEBC0180
	v_readlane_b32 s82, v3, 2                                  // 000000009090: D2890052 00010503
	s_and_b32 s82, s82, 0xffffff                               // 000000009098: 8652FF52 00FFFFFF
	s_cmp_lt_u32 s82, s66                                      // 0000000090A0: BF0A4252
	s_cselect_b32 s20, s36, s60                                // 0000000090A4: 85143C24
	v_readlane_b32 s82, v3, 3                                  // 0000000090A8: D2890052 00010703
	s_and_b32 s82, s82, 0xffffff                               // 0000000090B0: 8652FF52 00FFFFFF
	s_cmp_lt_u32 s82, s66                                      // 0000000090B8: BF0A4252
	s_cselect_b32 s21, s36, s60                                // 0000000090BC: 85153C24
	s_mov_b64 exec, s[20:21]                                   // 0000000090C0: BEFE0114
	buffer_store_dword v89, v6, s[8:11], 0 offen               // 0000000090C4: E0701000 80025906
	buffer_store_dword v91, v6, s[8:11], 0 offen offset:128    // 0000000090CC: E0701080 80025B06
	s_mov_b64 exec, s[36:37]                                   // 0000000090D4: BEFE0124
	v_mov_b32_e32 v6, v68                                      // 0000000090D8: 7E0C0344
	s_mov_b64 s[60:61], 0                                      // 0000000090DC: BEBC0180
	v_readlane_b32 s82, v3, 4                                  // 0000000090E0: D2890052 00010903
	s_and_b32 s82, s82, 0xffffff                               // 0000000090E8: 8652FF52 00FFFFFF
	s_cmp_lt_u32 s82, s66                                      // 0000000090F0: BF0A4252
	s_cselect_b32 s20, s36, s60                                // 0000000090F4: 85143C24
	v_readlane_b32 s82, v3, 5                                  // 0000000090F8: D2890052 00010B03
	s_and_b32 s82, s82, 0xffffff                               // 000000009100: 8652FF52 00FFFFFF
	s_cmp_lt_u32 s82, s66                                      // 000000009108: BF0A4252
	s_cselect_b32 s21, s36, s60                                // 00000000910C: 85153C24
	s_mov_b64 exec, s[20:21]                                   // 000000009110: BEFE0114
	buffer_store_dword v92, v6, s[8:11], 0 offen               // 000000009114: E0701000 80025C06
	buffer_store_dword v94, v6, s[8:11], 0 offen offset:128    // 00000000911C: E0701080 80025E06
	s_mov_b64 exec, s[36:37]                                   // 000000009124: BEFE0124
	v_mov_b32_e32 v6, v69                                      // 000000009128: 7E0C0345
	s_mov_b64 s[60:61], 0                                      // 00000000912C: BEBC0180
	v_readlane_b32 s82, v3, 6                                  // 000000009130: D2890052 00010D03
	s_and_b32 s82, s82, 0xffffff                               // 000000009138: 8652FF52 00FFFFFF
	s_cmp_lt_u32 s82, s66                                      // 000000009140: BF0A4252
	s_cselect_b32 s20, s36, s60                                // 000000009144: 85143C24
	v_readlane_b32 s82, v3, 7                                  // 000000009148: D2890052 00010F03
	s_and_b32 s82, s82, 0xffffff                               // 000000009150: 8652FF52 00FFFFFF
	s_cmp_lt_u32 s82, s66                                      // 000000009158: BF0A4252
	s_cselect_b32 s21, s36, s60                                // 00000000915C: 85153C24
	s_mov_b64 exec, s[20:21]                                   // 000000009160: BEFE0114
	buffer_store_dword v93, v6, s[8:11], 0 offen               // 000000009164: E0701000 80025D06
	buffer_store_dword v95, v6, s[8:11], 0 offen offset:128    // 00000000916C: E0701080 80025F06
	s_mov_b64 exec, s[36:37]                                   // 000000009174: BEFE0124
	v_mov_b32_e32 v6, v70                                      // 000000009178: 7E0C0346
	s_mov_b64 s[60:61], 0                                      // 00000000917C: BEBC0180
	v_readlane_b32 s82, v3, 8                                  // 000000009180: D2890052 00011103
	s_and_b32 s82, s82, 0xffffff                               // 000000009188: 8652FF52 00FFFFFF
	s_cmp_lt_u32 s82, s66                                      // 000000009190: BF0A4252
	s_cselect_b32 s20, s36, s60                                // 000000009194: 85143C24
	v_readlane_b32 s82, v3, 9                                  // 000000009198: D2890052 00011303
	s_and_b32 s82, s82, 0xffffff                               // 0000000091A0: 8652FF52 00FFFFFF
	s_cmp_lt_u32 s82, s66                                      // 0000000091A8: BF0A4252
	s_cselect_b32 s21, s36, s60                                // 0000000091AC: 85153C24
	s_mov_b64 exec, s[20:21]                                   // 0000000091B0: BEFE0114
	buffer_store_dword v96, v6, s[8:11], 0 offen               // 0000000091B4: E0701000 80026006
	buffer_store_dword v98, v6, s[8:11], 0 offen offset:128    // 0000000091BC: E0701080 80026206
	s_mov_b64 exec, s[36:37]                                   // 0000000091C4: BEFE0124
	v_mov_b32_e32 v6, v71                                      // 0000000091C8: 7E0C0347
	s_mov_b64 s[60:61], 0                                      // 0000000091CC: BEBC0180
	v_readlane_b32 s82, v3, 10                                 // 0000000091D0: D2890052 00011503
	s_and_b32 s82, s82, 0xffffff                               // 0000000091D8: 8652FF52 00FFFFFF
	s_cmp_lt_u32 s82, s66                                      // 0000000091E0: BF0A4252
	s_cselect_b32 s20, s36, s60                                // 0000000091E4: 85143C24
	v_readlane_b32 s82, v3, 11                                 // 0000000091E8: D2890052 00011703
	s_and_b32 s82, s82, 0xffffff                               // 0000000091F0: 8652FF52 00FFFFFF
	s_cmp_lt_u32 s82, s66                                      // 0000000091F8: BF0A4252
	s_cselect_b32 s21, s36, s60                                // 0000000091FC: 85153C24
	s_mov_b64 exec, s[20:21]                                   // 000000009200: BEFE0114
	buffer_store_dword v97, v6, s[8:11], 0 offen               // 000000009204: E0701000 80026106
	buffer_store_dword v99, v6, s[8:11], 0 offen offset:128    // 00000000920C: E0701080 80026306
	s_mov_b64 exec, s[36:37]                                   // 000000009214: BEFE0124
	v_mov_b32_e32 v6, v72                                      // 000000009218: 7E0C0348
	s_mov_b64 s[60:61], 0                                      // 00000000921C: BEBC0180
	v_readlane_b32 s82, v3, 12                                 // 000000009220: D2890052 00011903
	s_and_b32 s82, s82, 0xffffff                               // 000000009228: 8652FF52 00FFFFFF
	s_cmp_lt_u32 s82, s66                                      // 000000009230: BF0A4252
	s_cselect_b32 s20, s36, s60                                // 000000009234: 85143C24
	v_readlane_b32 s82, v3, 13                                 // 000000009238: D2890052 00011B03
	s_and_b32 s82, s82, 0xffffff                               // 000000009240: 8652FF52 00FFFFFF
	s_cmp_lt_u32 s82, s66                                      // 000000009248: BF0A4252
	s_cselect_b32 s21, s36, s60                                // 00000000924C: 85153C24
	s_mov_b64 exec, s[20:21]                                   // 000000009250: BEFE0114
	buffer_store_dword v100, v6, s[8:11], 0 offen              // 000000009254: E0701000 80026406
	buffer_store_dword v102, v6, s[8:11], 0 offen offset:128   // 00000000925C: E0701080 80026606
	s_mov_b64 exec, s[36:37]                                   // 000000009264: BEFE0124
	v_mov_b32_e32 v6, v73                                      // 000000009268: 7E0C0349
	s_mov_b64 s[60:61], 0                                      // 00000000926C: BEBC0180
	v_readlane_b32 s82, v3, 14                                 // 000000009270: D2890052 00011D03
	s_and_b32 s82, s82, 0xffffff                               // 000000009278: 8652FF52 00FFFFFF
	s_cmp_lt_u32 s82, s66                                      // 000000009280: BF0A4252
	s_cselect_b32 s20, s36, s60                                // 000000009284: 85143C24
	v_readlane_b32 s82, v3, 15                                 // 000000009288: D2890052 00011F03
	s_and_b32 s82, s82, 0xffffff                               // 000000009290: 8652FF52 00FFFFFF
	s_cmp_lt_u32 s82, s66                                      // 000000009298: BF0A4252
	s_cselect_b32 s21, s36, s60                                // 00000000929C: 85153C24
	s_mov_b64 exec, s[20:21]                                   // 0000000092A0: BEFE0114
	buffer_store_dword v101, v6, s[8:11], 0 offen              // 0000000092A4: E0701000 80026506
	buffer_store_dword v103, v6, s[8:11], 0 offen offset:128   // 0000000092AC: E0701080 80026706
	s_mov_b64 exec, s[36:37]                                   // 0000000092B4: BEFE0124
	v_mov_b32_e32 v6, v74                                      // 0000000092B8: 7E0C034A
	s_mov_b64 s[60:61], 0                                      // 0000000092BC: BEBC0180
	v_readlane_b32 s82, v3, 16                                 // 0000000092C0: D2890052 00012103
	s_and_b32 s82, s82, 0xffffff                               // 0000000092C8: 8652FF52 00FFFFFF
	s_cmp_lt_u32 s82, s66                                      // 0000000092D0: BF0A4252
	s_cselect_b32 s20, s36, s60                                // 0000000092D4: 85143C24
	v_readlane_b32 s82, v3, 17                                 // 0000000092D8: D2890052 00012303
	s_and_b32 s82, s82, 0xffffff                               // 0000000092E0: 8652FF52 00FFFFFF
	s_cmp_lt_u32 s82, s66                                      // 0000000092E8: BF0A4252
	s_cselect_b32 s21, s36, s60                                // 0000000092EC: 85153C24
	s_mov_b64 exec, s[20:21]                                   // 0000000092F0: BEFE0114
	buffer_store_dword v104, v6, s[8:11], 0 offen              // 0000000092F4: E0701000 80026806
	buffer_store_dword v106, v6, s[8:11], 0 offen offset:128   // 0000000092FC: E0701080 80026A06
	s_mov_b64 exec, s[36:37]                                   // 000000009304: BEFE0124
	v_mov_b32_e32 v6, v75                                      // 000000009308: 7E0C034B
	s_mov_b64 s[60:61], 0                                      // 00000000930C: BEBC0180
	v_readlane_b32 s82, v3, 18                                 // 000000009310: D2890052 00012503
	s_and_b32 s82, s82, 0xffffff                               // 000000009318: 8652FF52 00FFFFFF
	s_cmp_lt_u32 s82, s66                                      // 000000009320: BF0A4252
	s_cselect_b32 s20, s36, s60                                // 000000009324: 85143C24
	v_readlane_b32 s82, v3, 19                                 // 000000009328: D2890052 00012703
	s_and_b32 s82, s82, 0xffffff                               // 000000009330: 8652FF52 00FFFFFF
	s_cmp_lt_u32 s82, s66                                      // 000000009338: BF0A4252
	s_cselect_b32 s21, s36, s60                                // 00000000933C: 85153C24
	s_mov_b64 exec, s[20:21]                                   // 000000009340: BEFE0114
	buffer_store_dword v105, v6, s[8:11], 0 offen              // 000000009344: E0701000 80026906
	buffer_store_dword v107, v6, s[8:11], 0 offen offset:128   // 00000000934C: E0701080 80026B06
	s_mov_b64 exec, s[36:37]                                   // 000000009354: BEFE0124
	v_mov_b32_e32 v6, v76                                      // 000000009358: 7E0C034C
	s_mov_b64 s[60:61], 0                                      // 00000000935C: BEBC0180
	v_readlane_b32 s82, v3, 20                                 // 000000009360: D2890052 00012903
	s_and_b32 s82, s82, 0xffffff                               // 000000009368: 8652FF52 00FFFFFF
	s_cmp_lt_u32 s82, s66                                      // 000000009370: BF0A4252
	s_cselect_b32 s20, s36, s60                                // 000000009374: 85143C24
	v_readlane_b32 s82, v3, 21                                 // 000000009378: D2890052 00012B03
	s_and_b32 s82, s82, 0xffffff                               // 000000009380: 8652FF52 00FFFFFF
	s_cmp_lt_u32 s82, s66                                      // 000000009388: BF0A4252
	s_cselect_b32 s21, s36, s60                                // 00000000938C: 85153C24
	s_mov_b64 exec, s[20:21]                                   // 000000009390: BEFE0114
	buffer_store_dword v108, v6, s[8:11], 0 offen              // 000000009394: E0701000 80026C06
	buffer_store_dword v110, v6, s[8:11], 0 offen offset:128   // 00000000939C: E0701080 80026E06
	s_mov_b64 exec, s[36:37]                                   // 0000000093A4: BEFE0124
	v_mov_b32_e32 v6, v77                                      // 0000000093A8: 7E0C034D
	s_mov_b64 s[60:61], 0                                      // 0000000093AC: BEBC0180
	v_readlane_b32 s82, v3, 22                                 // 0000000093B0: D2890052 00012D03
	s_and_b32 s82, s82, 0xffffff                               // 0000000093B8: 8652FF52 00FFFFFF
	s_cmp_lt_u32 s82, s66                                      // 0000000093C0: BF0A4252
	s_cselect_b32 s20, s36, s60                                // 0000000093C4: 85143C24
	v_readlane_b32 s82, v3, 23                                 // 0000000093C8: D2890052 00012F03
	s_and_b32 s82, s82, 0xffffff                               // 0000000093D0: 8652FF52 00FFFFFF
	s_cmp_lt_u32 s82, s66                                      // 0000000093D8: BF0A4252
	s_cselect_b32 s21, s36, s60                                // 0000000093DC: 85153C24
	s_mov_b64 exec, s[20:21]                                   // 0000000093E0: BEFE0114
	buffer_store_dword v109, v6, s[8:11], 0 offen              // 0000000093E4: E0701000 80026D06
	buffer_store_dword v111, v6, s[8:11], 0 offen offset:128   // 0000000093EC: E0701080 80026F06
	s_mov_b64 exec, s[36:37]                                   // 0000000093F4: BEFE0124
	v_mov_b32_e32 v6, v78                                      // 0000000093F8: 7E0C034E
	s_mov_b64 s[60:61], 0                                      // 0000000093FC: BEBC0180
	v_readlane_b32 s82, v3, 24                                 // 000000009400: D2890052 00013103
	s_and_b32 s82, s82, 0xffffff                               // 000000009408: 8652FF52 00FFFFFF
	s_cmp_lt_u32 s82, s66                                      // 000000009410: BF0A4252
	s_cselect_b32 s20, s36, s60                                // 000000009414: 85143C24
	v_readlane_b32 s82, v3, 25                                 // 000000009418: D2890052 00013303
	s_and_b32 s82, s82, 0xffffff                               // 000000009420: 8652FF52 00FFFFFF
	s_cmp_lt_u32 s82, s66                                      // 000000009428: BF0A4252
	s_cselect_b32 s21, s36, s60                                // 00000000942C: 85153C24
	s_mov_b64 exec, s[20:21]                                   // 000000009430: BEFE0114
	buffer_store_dword v112, v6, s[8:11], 0 offen              // 000000009434: E0701000 80027006
	buffer_store_dword v114, v6, s[8:11], 0 offen offset:128   // 00000000943C: E0701080 80027206
	s_mov_b64 exec, s[36:37]                                   // 000000009444: BEFE0124
	v_mov_b32_e32 v6, v79                                      // 000000009448: 7E0C034F
	s_mov_b64 s[60:61], 0                                      // 00000000944C: BEBC0180
	v_readlane_b32 s82, v3, 26                                 // 000000009450: D2890052 00013503
	s_and_b32 s82, s82, 0xffffff                               // 000000009458: 8652FF52 00FFFFFF
	s_cmp_lt_u32 s82, s66                                      // 000000009460: BF0A4252
	s_cselect_b32 s20, s36, s60                                // 000000009464: 85143C24
	v_readlane_b32 s82, v3, 27                                 // 000000009468: D2890052 00013703
	s_and_b32 s82, s82, 0xffffff                               // 000000009470: 8652FF52 00FFFFFF
	s_cmp_lt_u32 s82, s66                                      // 000000009478: BF0A4252
	s_cselect_b32 s21, s36, s60                                // 00000000947C: 85153C24
	s_mov_b64 exec, s[20:21]                                   // 000000009480: BEFE0114
	buffer_store_dword v113, v6, s[8:11], 0 offen              // 000000009484: E0701000 80027106
	buffer_store_dword v115, v6, s[8:11], 0 offen offset:128   // 00000000948C: E0701080 80027306
	s_mov_b64 exec, s[36:37]                                   // 000000009494: BEFE0124
	v_mov_b32_e32 v6, v80                                      // 000000009498: 7E0C0350
	s_mov_b64 s[60:61], 0                                      // 00000000949C: BEBC0180
	v_readlane_b32 s82, v3, 28                                 // 0000000094A0: D2890052 00013903
	s_and_b32 s82, s82, 0xffffff                               // 0000000094A8: 8652FF52 00FFFFFF
	s_cmp_lt_u32 s82, s66                                      // 0000000094B0: BF0A4252
	s_cselect_b32 s20, s36, s60                                // 0000000094B4: 85143C24
	v_readlane_b32 s82, v3, 29                                 // 0000000094B8: D2890052 00013B03
	s_and_b32 s82, s82, 0xffffff                               // 0000000094C0: 8652FF52 00FFFFFF
	s_cmp_lt_u32 s82, s66                                      // 0000000094C8: BF0A4252
	s_cselect_b32 s21, s36, s60                                // 0000000094CC: 85153C24
	s_mov_b64 exec, s[20:21]                                   // 0000000094D0: BEFE0114
	buffer_store_dword v116, v6, s[8:11], 0 offen              // 0000000094D4: E0701000 80027406
	buffer_store_dword v118, v6, s[8:11], 0 offen offset:128   // 0000000094DC: E0701080 80027606
	s_mov_b64 exec, s[36:37]                                   // 0000000094E4: BEFE0124
	v_mov_b32_e32 v6, v81                                      // 0000000094E8: 7E0C0351
	s_mov_b64 s[60:61], 0                                      // 0000000094EC: BEBC0180
	v_readlane_b32 s82, v3, 30                                 // 0000000094F0: D2890052 00013D03
	s_and_b32 s82, s82, 0xffffff                               // 0000000094F8: 8652FF52 00FFFFFF
	s_cmp_lt_u32 s82, s66                                      // 000000009500: BF0A4252
	s_cselect_b32 s20, s36, s60                                // 000000009504: 85143C24
	v_readlane_b32 s82, v3, 31                                 // 000000009508: D2890052 00013F03
	s_and_b32 s82, s82, 0xffffff                               // 000000009510: 8652FF52 00FFFFFF
	s_cmp_lt_u32 s82, s66                                      // 000000009518: BF0A4252
	s_cselect_b32 s21, s36, s60                                // 00000000951C: 85153C24
	s_mov_b64 exec, s[20:21]                                   // 000000009520: BEFE0114
	buffer_store_dword v117, v6, s[8:11], 0 offen              // 000000009524: E0701000 80027506
	buffer_store_dword v119, v6, s[8:11], 0 offen offset:128   // 00000000952C: E0701080 80027706
	s_mov_b64 exec, s[36:37]                                   // 000000009534: BEFE0124
	v_mov_b32_e32 v6, v82                                      // 000000009538: 7E0C0352
	s_mov_b64 s[60:61], 0                                      // 00000000953C: BEBC0180
	v_readlane_b32 s82, v3, 32                                 // 000000009540: D2890052 00014103
	s_and_b32 s82, s82, 0xffffff                               // 000000009548: 8652FF52 00FFFFFF
	s_cmp_lt_u32 s82, s66                                      // 000000009550: BF0A4252
	s_cselect_b32 s20, s36, s60                                // 000000009554: 85143C24
	v_readlane_b32 s82, v3, 33                                 // 000000009558: D2890052 00014303
	s_and_b32 s82, s82, 0xffffff                               // 000000009560: 8652FF52 00FFFFFF
	s_cmp_lt_u32 s82, s66                                      // 000000009568: BF0A4252
	s_cselect_b32 s21, s36, s60                                // 00000000956C: 85153C24
	s_mov_b64 exec, s[20:21]                                   // 000000009570: BEFE0114
	buffer_store_dword v120, v6, s[8:11], 0 offen              // 000000009574: E0701000 80027806
	buffer_store_dword v122, v6, s[8:11], 0 offen offset:128   // 00000000957C: E0701080 80027A06
	s_mov_b64 exec, s[36:37]                                   // 000000009584: BEFE0124
	v_mov_b32_e32 v6, v83                                      // 000000009588: 7E0C0353
	s_mov_b64 s[60:61], 0                                      // 00000000958C: BEBC0180
	v_readlane_b32 s82, v3, 34                                 // 000000009590: D2890052 00014503
	s_and_b32 s82, s82, 0xffffff                               // 000000009598: 8652FF52 00FFFFFF
	s_cmp_lt_u32 s82, s66                                      // 0000000095A0: BF0A4252
	s_cselect_b32 s20, s36, s60                                // 0000000095A4: 85143C24
	v_readlane_b32 s82, v3, 35                                 // 0000000095A8: D2890052 00014703
	s_and_b32 s82, s82, 0xffffff                               // 0000000095B0: 8652FF52 00FFFFFF
	s_cmp_lt_u32 s82, s66                                      // 0000000095B8: BF0A4252
	s_cselect_b32 s21, s36, s60                                // 0000000095BC: 85153C24
	s_mov_b64 exec, s[20:21]                                   // 0000000095C0: BEFE0114
	buffer_store_dword v121, v6, s[8:11], 0 offen              // 0000000095C4: E0701000 80027906
	buffer_store_dword v123, v6, s[8:11], 0 offen offset:128   // 0000000095CC: E0701080 80027B06
	s_mov_b64 exec, s[36:37]                                   // 0000000095D4: BEFE0124
	s_branch label_4416                                        // 0000000095D8: BF82291C

00000000000095dc <label_1AF7>:
	ds_write_b64 v20, v[88:89]                                 // 0000000095DC: D89A0000 00005814
	ds_write_b64 v20, v[92:93] offset:4352                     // 0000000095E4: D89A1100 00005C14
	ds_write_b64 v20, v[96:97] offset:8704                     // 0000000095EC: D89A2200 00006014
	ds_write_b64 v20, v[100:101] offset:13056                  // 0000000095F4: D89A3300 00006414
	ds_write_b64 v20, v[104:105] offset:17408                  // 0000000095FC: D89A4400 00006814
	ds_write_b64 v20, v[108:109] offset:21760                  // 000000009604: D89A5500 00006C14
	ds_write_b64 v20, v[112:113] offset:26112                  // 00000000960C: D89A6600 00007014
	ds_write_b64 v20, v[116:117] offset:30464                  // 000000009614: D89A7700 00007414
	ds_write_b64 v20, v[120:121] offset:34816                  // 00000000961C: D89A8800 00007814
	ds_write_b64 v20, v[124:125] offset:2176                   // 000000009624: D89A0880 00007C14
	ds_write_b64 v20, v[128:129] offset:6528                   // 00000000962C: D89A1980 00008014
	ds_write_b64 v20, v[132:133] offset:10880                  // 000000009634: D89A2A80 00008414
	ds_write_b64 v20, v[136:137] offset:15232                  // 00000000963C: D89A3B80 00008814
	ds_write_b64 v20, v[140:141] offset:19584                  // 000000009644: D89A4C80 00008C14
	ds_write_b64 v20, v[144:145] offset:23936                  // 00000000964C: D89A5D80 00009014
	ds_write_b64 v20, v[148:149] offset:28288                  // 000000009654: D89A6E80 00009414
	ds_write_b64 v20, v[152:153] offset:32640                  // 00000000965C: D89A7F80 00009814
	ds_write_b64 v20, v[156:157] offset:36992                  // 000000009664: D89A9080 00009C14
	v_lshrrev_b32_e32 v4, 5, v0                                // 00000000966C: 20080085
	v_xor_b32_e32 v5, 1, v4                                    // 000000009670: 2A0A0881
	s_mul_i32 s60, s65, 2                                      // 000000009674: 923C8241
	s_cmp_eq_u32 s88, 0                                        // 000000009678: BF068058
	s_cselect_b32 s61, 1, 4                                    // 00000000967C: 853D8481
	s_mul_i32 s60, s61, s60                                    // 000000009680: 923C3C3D
	v_readlane_b32 s82, v3, 0                                  // 000000009684: D2890052 00010103
	s_lshr_b32 s61, s82, 24                                    // 00000000968C: 8F3D9852
	s_and_b32 s82, s82, 0xffffff                               // 000000009690: 8652FF52 00FFFFFF
	s_mul_i32 s82, s82, s71                                    // 000000009698: 92524752
	s_mul_i32 s61, s60, s61                                    // 00000000969C: 923D3D3C
	s_add_u32 s82, s82, s61                                    // 0000000096A0: 80523D52
	v_mul_lo_u32 v6, v5, s82                                   // 0000000096A4: D2850006 0000A505
	v_readlane_b32 s82, v3, 1                                  // 0000000096AC: D2890052 00010303
	s_lshr_b32 s61, s82, 24                                    // 0000000096B4: 8F3D9852
	s_and_b32 s82, s82, 0xffffff                               // 0000000096B8: 8652FF52 00FFFFFF
	s_mul_i32 s82, s82, s71                                    // 0000000096C0: 92524752
	s_mul_i32 s61, s60, s61                                    // 0000000096C4: 923D3D3C
	s_add_u32 s82, s82, s61                                    // 0000000096C8: 80523D52
	v_mul_lo_u32 v7, v4, s82                                   // 0000000096CC: D2850007 0000A504
	v_add_u32_e32 v66, v6, v7                                  // 0000000096D4: 68840F06
	v_readlane_b32 s82, v3, 2                                  // 0000000096D8: D2890052 00010503
	s_lshr_b32 s61, s82, 24                                    // 0000000096E0: 8F3D9852
	s_and_b32 s82, s82, 0xffffff                               // 0000000096E4: 8652FF52 00FFFFFF
	s_mul_i32 s82, s82, s71                                    // 0000000096EC: 92524752
	s_mul_i32 s61, s60, s61                                    // 0000000096F0: 923D3D3C
	s_add_u32 s82, s82, s61                                    // 0000000096F4: 80523D52
	v_mul_lo_u32 v6, v5, s82                                   // 0000000096F8: D2850006 0000A505
	v_readlane_b32 s82, v3, 3                                  // 000000009700: D2890052 00010703
	s_lshr_b32 s61, s82, 24                                    // 000000009708: 8F3D9852
	s_and_b32 s82, s82, 0xffffff                               // 00000000970C: 8652FF52 00FFFFFF
	s_mul_i32 s82, s82, s71                                    // 000000009714: 92524752
	s_mul_i32 s61, s60, s61                                    // 000000009718: 923D3D3C
	s_add_u32 s82, s82, s61                                    // 00000000971C: 80523D52
	v_mul_lo_u32 v7, v4, s82                                   // 000000009720: D2850007 0000A504
	v_add_u32_e32 v67, v6, v7                                  // 000000009728: 68860F06
	v_readlane_b32 s82, v3, 4                                  // 00000000972C: D2890052 00010903
	s_lshr_b32 s61, s82, 24                                    // 000000009734: 8F3D9852
	s_and_b32 s82, s82, 0xffffff                               // 000000009738: 8652FF52 00FFFFFF
	s_mul_i32 s82, s82, s71                                    // 000000009740: 92524752
	s_mul_i32 s61, s60, s61                                    // 000000009744: 923D3D3C
	s_add_u32 s82, s82, s61                                    // 000000009748: 80523D52
	v_mul_lo_u32 v6, v5, s82                                   // 00000000974C: D2850006 0000A505
	v_readlane_b32 s82, v3, 5                                  // 000000009754: D2890052 00010B03
	s_lshr_b32 s61, s82, 24                                    // 00000000975C: 8F3D9852
	s_and_b32 s82, s82, 0xffffff                               // 000000009760: 8652FF52 00FFFFFF
	s_mul_i32 s82, s82, s71                                    // 000000009768: 92524752
	s_mul_i32 s61, s60, s61                                    // 00000000976C: 923D3D3C
	s_add_u32 s82, s82, s61                                    // 000000009770: 80523D52
	v_mul_lo_u32 v7, v4, s82                                   // 000000009774: D2850007 0000A504
	v_add_u32_e32 v68, v6, v7                                  // 00000000977C: 68880F06
	v_readlane_b32 s82, v3, 6                                  // 000000009780: D2890052 00010D03
	s_lshr_b32 s61, s82, 24                                    // 000000009788: 8F3D9852
	s_and_b32 s82, s82, 0xffffff                               // 00000000978C: 8652FF52 00FFFFFF
	s_mul_i32 s82, s82, s71                                    // 000000009794: 92524752
	s_mul_i32 s61, s60, s61                                    // 000000009798: 923D3D3C
	s_add_u32 s82, s82, s61                                    // 00000000979C: 80523D52
	v_mul_lo_u32 v6, v5, s82                                   // 0000000097A0: D2850006 0000A505
	v_readlane_b32 s82, v3, 7                                  // 0000000097A8: D2890052 00010F03
	s_lshr_b32 s61, s82, 24                                    // 0000000097B0: 8F3D9852
	s_and_b32 s82, s82, 0xffffff                               // 0000000097B4: 8652FF52 00FFFFFF
	s_mul_i32 s82, s82, s71                                    // 0000000097BC: 92524752
	s_mul_i32 s61, s60, s61                                    // 0000000097C0: 923D3D3C
	s_add_u32 s82, s82, s61                                    // 0000000097C4: 80523D52
	v_mul_lo_u32 v7, v4, s82                                   // 0000000097C8: D2850007 0000A504
	v_add_u32_e32 v69, v6, v7                                  // 0000000097D0: 688A0F06
	v_readlane_b32 s82, v3, 8                                  // 0000000097D4: D2890052 00011103
	s_lshr_b32 s61, s82, 24                                    // 0000000097DC: 8F3D9852
	s_and_b32 s82, s82, 0xffffff                               // 0000000097E0: 8652FF52 00FFFFFF
	s_mul_i32 s82, s82, s71                                    // 0000000097E8: 92524752
	s_mul_i32 s61, s60, s61                                    // 0000000097EC: 923D3D3C
	s_add_u32 s82, s82, s61                                    // 0000000097F0: 80523D52
	v_mul_lo_u32 v6, v5, s82                                   // 0000000097F4: D2850006 0000A505
	v_readlane_b32 s82, v3, 9                                  // 0000000097FC: D2890052 00011303
	s_lshr_b32 s61, s82, 24                                    // 000000009804: 8F3D9852
	s_and_b32 s82, s82, 0xffffff                               // 000000009808: 8652FF52 00FFFFFF
	s_mul_i32 s82, s82, s71                                    // 000000009810: 92524752
	s_mul_i32 s61, s60, s61                                    // 000000009814: 923D3D3C
	s_add_u32 s82, s82, s61                                    // 000000009818: 80523D52
	v_mul_lo_u32 v7, v4, s82                                   // 00000000981C: D2850007 0000A504
	v_add_u32_e32 v70, v6, v7                                  // 000000009824: 688C0F06
	v_readlane_b32 s82, v3, 10                                 // 000000009828: D2890052 00011503
	s_lshr_b32 s61, s82, 24                                    // 000000009830: 8F3D9852
	s_and_b32 s82, s82, 0xffffff                               // 000000009834: 8652FF52 00FFFFFF
	s_mul_i32 s82, s82, s71                                    // 00000000983C: 92524752
	s_mul_i32 s61, s60, s61                                    // 000000009840: 923D3D3C
	s_add_u32 s82, s82, s61                                    // 000000009844: 80523D52
	v_mul_lo_u32 v6, v5, s82                                   // 000000009848: D2850006 0000A505
	v_readlane_b32 s82, v3, 11                                 // 000000009850: D2890052 00011703
	s_lshr_b32 s61, s82, 24                                    // 000000009858: 8F3D9852
	s_and_b32 s82, s82, 0xffffff                               // 00000000985C: 8652FF52 00FFFFFF
	s_mul_i32 s82, s82, s71                                    // 000000009864: 92524752
	s_mul_i32 s61, s60, s61                                    // 000000009868: 923D3D3C
	s_add_u32 s82, s82, s61                                    // 00000000986C: 80523D52
	v_mul_lo_u32 v7, v4, s82                                   // 000000009870: D2850007 0000A504
	v_add_u32_e32 v71, v6, v7                                  // 000000009878: 688E0F06
	v_readlane_b32 s82, v3, 12                                 // 00000000987C: D2890052 00011903
	s_lshr_b32 s61, s82, 24                                    // 000000009884: 8F3D9852
	s_and_b32 s82, s82, 0xffffff                               // 000000009888: 8652FF52 00FFFFFF
	s_mul_i32 s82, s82, s71                                    // 000000009890: 92524752
	s_mul_i32 s61, s60, s61                                    // 000000009894: 923D3D3C
	s_add_u32 s82, s82, s61                                    // 000000009898: 80523D52
	v_mul_lo_u32 v6, v5, s82                                   // 00000000989C: D2850006 0000A505
	v_readlane_b32 s82, v3, 13                                 // 0000000098A4: D2890052 00011B03
	s_lshr_b32 s61, s82, 24                                    // 0000000098AC: 8F3D9852
	s_and_b32 s82, s82, 0xffffff                               // 0000000098B0: 8652FF52 00FFFFFF
	s_mul_i32 s82, s82, s71                                    // 0000000098B8: 92524752
	s_mul_i32 s61, s60, s61                                    // 0000000098BC: 923D3D3C
	s_add_u32 s82, s82, s61                                    // 0000000098C0: 80523D52
	v_mul_lo_u32 v7, v4, s82                                   // 0000000098C4: D2850007 0000A504
	v_add_u32_e32 v72, v6, v7                                  // 0000000098CC: 68900F06
	v_readlane_b32 s82, v3, 14                                 // 0000000098D0: D2890052 00011D03
	s_lshr_b32 s61, s82, 24                                    // 0000000098D8: 8F3D9852
	s_and_b32 s82, s82, 0xffffff                               // 0000000098DC: 8652FF52 00FFFFFF
	s_mul_i32 s82, s82, s71                                    // 0000000098E4: 92524752
	s_mul_i32 s61, s60, s61                                    // 0000000098E8: 923D3D3C
	s_add_u32 s82, s82, s61                                    // 0000000098EC: 80523D52
	v_mul_lo_u32 v6, v5, s82                                   // 0000000098F0: D2850006 0000A505
	v_readlane_b32 s82, v3, 15                                 // 0000000098F8: D2890052 00011F03
	s_lshr_b32 s61, s82, 24                                    // 000000009900: 8F3D9852
	s_and_b32 s82, s82, 0xffffff                               // 000000009904: 8652FF52 00FFFFFF
	s_mul_i32 s82, s82, s71                                    // 00000000990C: 92524752
	s_mul_i32 s61, s60, s61                                    // 000000009910: 923D3D3C
	s_add_u32 s82, s82, s61                                    // 000000009914: 80523D52
	v_mul_lo_u32 v7, v4, s82                                   // 000000009918: D2850007 0000A504
	v_add_u32_e32 v73, v6, v7                                  // 000000009920: 68920F06
	v_readlane_b32 s82, v3, 16                                 // 000000009924: D2890052 00012103
	s_lshr_b32 s61, s82, 24                                    // 00000000992C: 8F3D9852
	s_and_b32 s82, s82, 0xffffff                               // 000000009930: 8652FF52 00FFFFFF
	s_mul_i32 s82, s82, s71                                    // 000000009938: 92524752
	s_mul_i32 s61, s60, s61                                    // 00000000993C: 923D3D3C
	s_add_u32 s82, s82, s61                                    // 000000009940: 80523D52
	v_mul_lo_u32 v6, v5, s82                                   // 000000009944: D2850006 0000A505
	v_readlane_b32 s82, v3, 17                                 // 00000000994C: D2890052 00012303
	s_lshr_b32 s61, s82, 24                                    // 000000009954: 8F3D9852
	s_and_b32 s82, s82, 0xffffff                               // 000000009958: 8652FF52 00FFFFFF
	s_mul_i32 s82, s82, s71                                    // 000000009960: 92524752
	s_mul_i32 s61, s60, s61                                    // 000000009964: 923D3D3C
	s_add_u32 s82, s82, s61                                    // 000000009968: 80523D52
	v_mul_lo_u32 v7, v4, s82                                   // 00000000996C: D2850007 0000A504
	v_add_u32_e32 v74, v6, v7                                  // 000000009974: 68940F06
	v_readlane_b32 s82, v3, 18                                 // 000000009978: D2890052 00012503
	s_lshr_b32 s61, s82, 24                                    // 000000009980: 8F3D9852
	s_and_b32 s82, s82, 0xffffff                               // 000000009984: 8652FF52 00FFFFFF
	s_mul_i32 s82, s82, s71                                    // 00000000998C: 92524752
	s_mul_i32 s61, s60, s61                                    // 000000009990: 923D3D3C
	s_add_u32 s82, s82, s61                                    // 000000009994: 80523D52
	v_mul_lo_u32 v6, v5, s82                                   // 000000009998: D2850006 0000A505
	v_readlane_b32 s82, v3, 19                                 // 0000000099A0: D2890052 00012703
	s_lshr_b32 s61, s82, 24                                    // 0000000099A8: 8F3D9852
	s_and_b32 s82, s82, 0xffffff                               // 0000000099AC: 8652FF52 00FFFFFF
	s_mul_i32 s82, s82, s71                                    // 0000000099B4: 92524752
	s_mul_i32 s61, s60, s61                                    // 0000000099B8: 923D3D3C
	s_add_u32 s82, s82, s61                                    // 0000000099BC: 80523D52
	v_mul_lo_u32 v7, v4, s82                                   // 0000000099C0: D2850007 0000A504
	v_add_u32_e32 v75, v6, v7                                  // 0000000099C8: 68960F06
	v_readlane_b32 s82, v3, 20                                 // 0000000099CC: D2890052 00012903
	s_lshr_b32 s61, s82, 24                                    // 0000000099D4: 8F3D9852
	s_and_b32 s82, s82, 0xffffff                               // 0000000099D8: 8652FF52 00FFFFFF
	s_mul_i32 s82, s82, s71                                    // 0000000099E0: 92524752
	s_mul_i32 s61, s60, s61                                    // 0000000099E4: 923D3D3C
	s_add_u32 s82, s82, s61                                    // 0000000099E8: 80523D52
	v_mul_lo_u32 v6, v5, s82                                   // 0000000099EC: D2850006 0000A505
	v_readlane_b32 s82, v3, 21                                 // 0000000099F4: D2890052 00012B03
	s_lshr_b32 s61, s82, 24                                    // 0000000099FC: 8F3D9852
	s_and_b32 s82, s82, 0xffffff                               // 000000009A00: 8652FF52 00FFFFFF
	s_mul_i32 s82, s82, s71                                    // 000000009A08: 92524752
	s_mul_i32 s61, s60, s61                                    // 000000009A0C: 923D3D3C
	s_add_u32 s82, s82, s61                                    // 000000009A10: 80523D52
	v_mul_lo_u32 v7, v4, s82                                   // 000000009A14: D2850007 0000A504
	v_add_u32_e32 v76, v6, v7                                  // 000000009A1C: 68980F06
	v_readlane_b32 s82, v3, 22                                 // 000000009A20: D2890052 00012D03
	s_lshr_b32 s61, s82, 24                                    // 000000009A28: 8F3D9852
	s_and_b32 s82, s82, 0xffffff                               // 000000009A2C: 8652FF52 00FFFFFF
	s_mul_i32 s82, s82, s71                                    // 000000009A34: 92524752
	s_mul_i32 s61, s60, s61                                    // 000000009A38: 923D3D3C
	s_add_u32 s82, s82, s61                                    // 000000009A3C: 80523D52
	v_mul_lo_u32 v6, v5, s82                                   // 000000009A40: D2850006 0000A505
	v_readlane_b32 s82, v3, 23                                 // 000000009A48: D2890052 00012F03
	s_lshr_b32 s61, s82, 24                                    // 000000009A50: 8F3D9852
	s_and_b32 s82, s82, 0xffffff                               // 000000009A54: 8652FF52 00FFFFFF
	s_mul_i32 s82, s82, s71                                    // 000000009A5C: 92524752
	s_mul_i32 s61, s60, s61                                    // 000000009A60: 923D3D3C
	s_add_u32 s82, s82, s61                                    // 000000009A64: 80523D52
	v_mul_lo_u32 v7, v4, s82                                   // 000000009A68: D2850007 0000A504
	v_add_u32_e32 v77, v6, v7                                  // 000000009A70: 689A0F06
	v_readlane_b32 s82, v3, 24                                 // 000000009A74: D2890052 00013103
	s_lshr_b32 s61, s82, 24                                    // 000000009A7C: 8F3D9852
	s_and_b32 s82, s82, 0xffffff                               // 000000009A80: 8652FF52 00FFFFFF
	s_mul_i32 s82, s82, s71                                    // 000000009A88: 92524752
	s_mul_i32 s61, s60, s61                                    // 000000009A8C: 923D3D3C
	s_add_u32 s82, s82, s61                                    // 000000009A90: 80523D52
	v_mul_lo_u32 v6, v5, s82                                   // 000000009A94: D2850006 0000A505
	v_readlane_b32 s82, v3, 25                                 // 000000009A9C: D2890052 00013303
	s_lshr_b32 s61, s82, 24                                    // 000000009AA4: 8F3D9852
	s_and_b32 s82, s82, 0xffffff                               // 000000009AA8: 8652FF52 00FFFFFF
	s_mul_i32 s82, s82, s71                                    // 000000009AB0: 92524752
	s_mul_i32 s61, s60, s61                                    // 000000009AB4: 923D3D3C
	s_add_u32 s82, s82, s61                                    // 000000009AB8: 80523D52
	v_mul_lo_u32 v7, v4, s82                                   // 000000009ABC: D2850007 0000A504
	v_add_u32_e32 v78, v6, v7                                  // 000000009AC4: 689C0F06
	v_readlane_b32 s82, v3, 26                                 // 000000009AC8: D2890052 00013503
	s_lshr_b32 s61, s82, 24                                    // 000000009AD0: 8F3D9852
	s_and_b32 s82, s82, 0xffffff                               // 000000009AD4: 8652FF52 00FFFFFF
	s_mul_i32 s82, s82, s71                                    // 000000009ADC: 92524752
	s_mul_i32 s61, s60, s61                                    // 000000009AE0: 923D3D3C
	s_add_u32 s82, s82, s61                                    // 000000009AE4: 80523D52
	v_mul_lo_u32 v6, v5, s82                                   // 000000009AE8: D2850006 0000A505
	v_readlane_b32 s82, v3, 27                                 // 000000009AF0: D2890052 00013703
	s_lshr_b32 s61, s82, 24                                    // 000000009AF8: 8F3D9852
	s_and_b32 s82, s82, 0xffffff                               // 000000009AFC: 8652FF52 00FFFFFF
	s_mul_i32 s82, s82, s71                                    // 000000009B04: 92524752
	s_mul_i32 s61, s60, s61                                    // 000000009B08: 923D3D3C
	s_add_u32 s82, s82, s61                                    // 000000009B0C: 80523D52
	v_mul_lo_u32 v7, v4, s82                                   // 000000009B10: D2850007 0000A504
	v_add_u32_e32 v79, v6, v7                                  // 000000009B18: 689E0F06
	v_readlane_b32 s82, v3, 28                                 // 000000009B1C: D2890052 00013903
	s_lshr_b32 s61, s82, 24                                    // 000000009B24: 8F3D9852
	s_and_b32 s82, s82, 0xffffff                               // 000000009B28: 8652FF52 00FFFFFF
	s_mul_i32 s82, s82, s71                                    // 000000009B30: 92524752
	s_mul_i32 s61, s60, s61                                    // 000000009B34: 923D3D3C
	s_add_u32 s82, s82, s61                                    // 000000009B38: 80523D52
	v_mul_lo_u32 v6, v5, s82                                   // 000000009B3C: D2850006 0000A505
	v_readlane_b32 s82, v3, 29                                 // 000000009B44: D2890052 00013B03
	s_lshr_b32 s61, s82, 24                                    // 000000009B4C: 8F3D9852
	s_and_b32 s82, s82, 0xffffff                               // 000000009B50: 8652FF52 00FFFFFF
	s_mul_i32 s82, s82, s71                                    // 000000009B58: 92524752
	s_mul_i32 s61, s60, s61                                    // 000000009B5C: 923D3D3C
	s_add_u32 s82, s82, s61                                    // 000000009B60: 80523D52
	v_mul_lo_u32 v7, v4, s82                                   // 000000009B64: D2850007 0000A504
	v_add_u32_e32 v80, v6, v7                                  // 000000009B6C: 68A00F06
	v_readlane_b32 s82, v3, 30                                 // 000000009B70: D2890052 00013D03
	s_lshr_b32 s61, s82, 24                                    // 000000009B78: 8F3D9852
	s_and_b32 s82, s82, 0xffffff                               // 000000009B7C: 8652FF52 00FFFFFF
	s_mul_i32 s82, s82, s71                                    // 000000009B84: 92524752
	s_mul_i32 s61, s60, s61                                    // 000000009B88: 923D3D3C
	s_add_u32 s82, s82, s61                                    // 000000009B8C: 80523D52
	v_mul_lo_u32 v6, v5, s82                                   // 000000009B90: D2850006 0000A505
	v_readlane_b32 s82, v3, 31                                 // 000000009B98: D2890052 00013F03
	s_lshr_b32 s61, s82, 24                                    // 000000009BA0: 8F3D9852
	s_and_b32 s82, s82, 0xffffff                               // 000000009BA4: 8652FF52 00FFFFFF
	s_mul_i32 s82, s82, s71                                    // 000000009BAC: 92524752
	s_mul_i32 s61, s60, s61                                    // 000000009BB0: 923D3D3C
	s_add_u32 s82, s82, s61                                    // 000000009BB4: 80523D52
	v_mul_lo_u32 v7, v4, s82                                   // 000000009BB8: D2850007 0000A504
	v_add_u32_e32 v81, v6, v7                                  // 000000009BC0: 68A20F06
	v_readlane_b32 s82, v3, 32                                 // 000000009BC4: D2890052 00014103
	s_lshr_b32 s61, s82, 24                                    // 000000009BCC: 8F3D9852
	s_and_b32 s82, s82, 0xffffff                               // 000000009BD0: 8652FF52 00FFFFFF
	s_mul_i32 s82, s82, s71                                    // 000000009BD8: 92524752
	s_mul_i32 s61, s60, s61                                    // 000000009BDC: 923D3D3C
	s_add_u32 s82, s82, s61                                    // 000000009BE0: 80523D52
	v_mul_lo_u32 v6, v5, s82                                   // 000000009BE4: D2850006 0000A505
	v_readlane_b32 s82, v3, 33                                 // 000000009BEC: D2890052 00014303
	s_lshr_b32 s61, s82, 24                                    // 000000009BF4: 8F3D9852
	s_and_b32 s82, s82, 0xffffff                               // 000000009BF8: 8652FF52 00FFFFFF
	s_mul_i32 s82, s82, s71                                    // 000000009C00: 92524752
	s_mul_i32 s61, s60, s61                                    // 000000009C04: 923D3D3C
	s_add_u32 s82, s82, s61                                    // 000000009C08: 80523D52
	v_mul_lo_u32 v7, v4, s82                                   // 000000009C0C: D2850007 0000A504
	v_add_u32_e32 v82, v6, v7                                  // 000000009C14: 68A40F06
	v_readlane_b32 s82, v3, 34                                 // 000000009C18: D2890052 00014503
	s_lshr_b32 s61, s82, 24                                    // 000000009C20: 8F3D9852
	s_and_b32 s82, s82, 0xffffff                               // 000000009C24: 8652FF52 00FFFFFF
	s_mul_i32 s82, s82, s71                                    // 000000009C2C: 92524752
	s_mul_i32 s61, s60, s61                                    // 000000009C30: 923D3D3C
	s_add_u32 s82, s82, s61                                    // 000000009C34: 80523D52
	v_mul_lo_u32 v6, v5, s82                                   // 000000009C38: D2850006 0000A505
	v_readlane_b32 s82, v3, 35                                 // 000000009C40: D2890052 00014703
	s_lshr_b32 s61, s82, 24                                    // 000000009C48: 8F3D9852
	s_and_b32 s82, s82, 0xffffff                               // 000000009C4C: 8652FF52 00FFFFFF
	s_mul_i32 s82, s82, s71                                    // 000000009C54: 92524752
	s_mul_i32 s61, s60, s61                                    // 000000009C58: 923D3D3C
	s_add_u32 s82, s82, s61                                    // 000000009C5C: 80523D52
	v_mul_lo_u32 v7, v4, s82                                   // 000000009C60: D2850007 0000A504
	v_add_u32_e32 v83, v6, v7                                  // 000000009C68: 68A60F06
	v_and_b32_e32 v4, 31, v0                                   // 000000009C6C: 2608009F
	v_lshrrev_b32_e32 v4, 1, v4                                // 000000009C70: 20080881
	s_cmp_eq_u32 s88, 0                                        // 000000009C74: BF068058
	s_cselect_b32 s61, 2, 4                                    // 000000009C78: 853D8482
	v_mul_lo_u32 v4, v4, s61                                   // 000000009C7C: D2850004 00007B04
	v_and_b32_e64 v5, v0, 1                                    // 000000009C84: D1130005 00010300
	v_add_u32_e32 v4, v4, v5                                   // 000000009C8C: 68080B04
	v_lshlrev_b32_e32 v4, 2, v4                                // 000000009C90: 24080882
	v_add_u32_e32 v66, v66, v4                                 // 000000009C94: 68840942
	v_add_u32_e32 v67, v67, v4                                 // 000000009C98: 68860943
	v_add_u32_e32 v68, v68, v4                                 // 000000009C9C: 68880944
	v_add_u32_e32 v69, v69, v4                                 // 000000009CA0: 688A0945
	v_add_u32_e32 v70, v70, v4                                 // 000000009CA4: 688C0946
	v_add_u32_e32 v71, v71, v4                                 // 000000009CA8: 688E0947
	v_add_u32_e32 v72, v72, v4                                 // 000000009CAC: 68900948
	v_add_u32_e32 v73, v73, v4                                 // 000000009CB0: 68920949
	v_add_u32_e32 v74, v74, v4                                 // 000000009CB4: 6894094A
	v_add_u32_e32 v75, v75, v4                                 // 000000009CB8: 6896094B
	v_add_u32_e32 v76, v76, v4                                 // 000000009CBC: 6898094C
	v_add_u32_e32 v77, v77, v4                                 // 000000009CC0: 689A094D
	v_add_u32_e32 v78, v78, v4                                 // 000000009CC4: 689C094E
	v_add_u32_e32 v79, v79, v4                                 // 000000009CC8: 689E094F
	v_add_u32_e32 v80, v80, v4                                 // 000000009CCC: 68A00950
	v_add_u32_e32 v81, v81, v4                                 // 000000009CD0: 68A20951
	v_add_u32_e32 v82, v82, v4                                 // 000000009CD4: 68A40952
	v_add_u32_e32 v83, v83, v4                                 // 000000009CD8: 68A60953
	s_waitcnt lgkmcnt(0)                                       // 000000009CDC: BF8CC07F
	s_barrier                                                  // 000000009CE0: BF8A0000
	ds_read_b32 v88, v21                                       // 000000009CE4: D86C0000 58000015
	ds_read_b32 v89, v21 offset:64                             // 000000009CEC: D86C0040 59000015
	ds_read_b32 v92, v21 offset:2176                           // 000000009CF4: D86C0880 5C000015
	ds_read_b32 v93, v21 offset:2240                           // 000000009CFC: D86C08C0 5D000015
	ds_read_b32 v96, v21 offset:4352                           // 000000009D04: D86C1100 60000015
	ds_read_b32 v97, v21 offset:4416                           // 000000009D0C: D86C1140 61000015
	ds_read_b32 v100, v21 offset:6528                          // 000000009D14: D86C1980 64000015
	ds_read_b32 v101, v21 offset:6592                          // 000000009D1C: D86C19C0 65000015
	ds_read_b32 v104, v21 offset:8704                          // 000000009D24: D86C2200 68000015
	ds_read_b32 v105, v21 offset:8768                          // 000000009D2C: D86C2240 69000015
	ds_read_b32 v108, v21 offset:10880                         // 000000009D34: D86C2A80 6C000015
	ds_read_b32 v109, v21 offset:10944                         // 000000009D3C: D86C2AC0 6D000015
	ds_read_b32 v112, v21 offset:13056                         // 000000009D44: D86C3300 70000015
	ds_read_b32 v113, v21 offset:13120                         // 000000009D4C: D86C3340 71000015
	ds_read_b32 v116, v21 offset:15232                         // 000000009D54: D86C3B80 74000015
	ds_read_b32 v117, v21 offset:15296                         // 000000009D5C: D86C3BC0 75000015
	ds_read_b32 v120, v21 offset:17408                         // 000000009D64: D86C4400 78000015
	ds_read_b32 v121, v21 offset:17472                         // 000000009D6C: D86C4440 79000015
	ds_read_b32 v124, v21 offset:19584                         // 000000009D74: D86C4C80 7C000015
	ds_read_b32 v125, v21 offset:19648                         // 000000009D7C: D86C4CC0 7D000015
	ds_read_b32 v128, v21 offset:21760                         // 000000009D84: D86C5500 80000015
	ds_read_b32 v129, v21 offset:21824                         // 000000009D8C: D86C5540 81000015
	ds_read_b32 v132, v21 offset:23936                         // 000000009D94: D86C5D80 84000015
	ds_read_b32 v133, v21 offset:24000                         // 000000009D9C: D86C5DC0 85000015
	ds_read_b32 v136, v21 offset:26112                         // 000000009DA4: D86C6600 88000015
	ds_read_b32 v137, v21 offset:26176                         // 000000009DAC: D86C6640 89000015
	ds_read_b32 v140, v21 offset:28288                         // 000000009DB4: D86C6E80 8C000015
	ds_read_b32 v141, v21 offset:28352                         // 000000009DBC: D86C6EC0 8D000015
	ds_read_b32 v144, v21 offset:30464                         // 000000009DC4: D86C7700 90000015
	ds_read_b32 v145, v21 offset:30528                         // 000000009DCC: D86C7740 91000015
	ds_read_b32 v148, v21 offset:32640                         // 000000009DD4: D86C7F80 94000015
	ds_read_b32 v149, v21 offset:32704                         // 000000009DDC: D86C7FC0 95000015
	ds_read_b32 v152, v21 offset:34816                         // 000000009DE4: D86C8800 98000015
	ds_read_b32 v153, v21 offset:34880                         // 000000009DEC: D86C8840 99000015
	ds_read_b32 v156, v21 offset:36992                         // 000000009DF4: D86C9080 9C000015
	ds_read_b32 v157, v21 offset:37056                         // 000000009DFC: D86C90C0 9D000015
	s_waitcnt lgkmcnt(0)                                       // 000000009E04: BF8CC07F
	s_mov_b32 s36, -1                                          // 000000009E08: BEA400C1
	s_mov_b32 s37, -1                                          // 000000009E0C: BEA500C1
	v_mov_b32_e32 v7, 0                                        // 000000009E10: 7E0E0280
	s_mov_b64 exec, s[36:37]                                   // 000000009E14: BEFE0124
	v_mov_b32_e32 v6, v66                                      // 000000009E18: 7E0C0342
	s_mov_b64 s[60:61], 0                                      // 000000009E1C: BEBC0180
	v_readlane_b32 s82, v3, 0                                  // 000000009E20: D2890052 00010103
	s_and_b32 s82, s82, 0xffffff                               // 000000009E28: 8652FF52 00FFFFFF
	s_cmp_lt_u32 s82, s66                                      // 000000009E30: BF0A4252
	s_cselect_b32 s20, s36, s60                                // 000000009E34: 85143C24
	v_readlane_b32 s82, v3, 1                                  // 000000009E38: D2890052 00010303
	s_and_b32 s82, s82, 0xffffff                               // 000000009E40: 8652FF52 00FFFFFF
	s_cmp_lt_u32 s82, s66                                      // 000000009E48: BF0A4252
	s_cselect_b32 s21, s36, s60                                // 000000009E4C: 85153C24
	s_mov_b64 exec, s[20:21]                                   // 000000009E50: BEFE0114
	global_atomic_add_f32 v6, v88, s[8:9]                      // 000000009E54: DD348000 00085806
	global_atomic_add_f32 v6, v92, s[8:9] offset:256           // 000000009E5C: DD348100 00085C06
	s_mov_b64 exec, s[36:37]                                   // 000000009E64: BEFE0124
	v_mov_b32_e32 v6, v67                                      // 000000009E68: 7E0C0343
	s_mov_b64 s[60:61], 0                                      // 000000009E6C: BEBC0180
	v_readlane_b32 s82, v3, 2                                  // 000000009E70: D2890052 00010503
	s_and_b32 s82, s82, 0xffffff                               // 000000009E78: 8652FF52 00FFFFFF
	s_cmp_lt_u32 s82, s66                                      // 000000009E80: BF0A4252
	s_cselect_b32 s20, s36, s60                                // 000000009E84: 85143C24
	v_readlane_b32 s82, v3, 3                                  // 000000009E88: D2890052 00010703
	s_and_b32 s82, s82, 0xffffff                               // 000000009E90: 8652FF52 00FFFFFF
	s_cmp_lt_u32 s82, s66                                      // 000000009E98: BF0A4252
	s_cselect_b32 s21, s36, s60                                // 000000009E9C: 85153C24
	s_mov_b64 exec, s[20:21]                                   // 000000009EA0: BEFE0114
	global_atomic_add_f32 v6, v89, s[8:9]                      // 000000009EA4: DD348000 00085906
	global_atomic_add_f32 v6, v93, s[8:9] offset:256           // 000000009EAC: DD348100 00085D06
	s_mov_b64 exec, s[36:37]                                   // 000000009EB4: BEFE0124
	v_mov_b32_e32 v6, v68                                      // 000000009EB8: 7E0C0344
	s_mov_b64 s[60:61], 0                                      // 000000009EBC: BEBC0180
	v_readlane_b32 s82, v3, 4                                  // 000000009EC0: D2890052 00010903
	s_and_b32 s82, s82, 0xffffff                               // 000000009EC8: 8652FF52 00FFFFFF
	s_cmp_lt_u32 s82, s66                                      // 000000009ED0: BF0A4252
	s_cselect_b32 s20, s36, s60                                // 000000009ED4: 85143C24
	v_readlane_b32 s82, v3, 5                                  // 000000009ED8: D2890052 00010B03
	s_and_b32 s82, s82, 0xffffff                               // 000000009EE0: 8652FF52 00FFFFFF
	s_cmp_lt_u32 s82, s66                                      // 000000009EE8: BF0A4252
	s_cselect_b32 s21, s36, s60                                // 000000009EEC: 85153C24
	s_mov_b64 exec, s[20:21]                                   // 000000009EF0: BEFE0114
	global_atomic_add_f32 v6, v96, s[8:9]                      // 000000009EF4: DD348000 00086006
	global_atomic_add_f32 v6, v100, s[8:9] offset:256          // 000000009EFC: DD348100 00086406
	s_mov_b64 exec, s[36:37]                                   // 000000009F04: BEFE0124
	v_mov_b32_e32 v6, v69                                      // 000000009F08: 7E0C0345
	s_mov_b64 s[60:61], 0                                      // 000000009F0C: BEBC0180
	v_readlane_b32 s82, v3, 6                                  // 000000009F10: D2890052 00010D03
	s_and_b32 s82, s82, 0xffffff                               // 000000009F18: 8652FF52 00FFFFFF
	s_cmp_lt_u32 s82, s66                                      // 000000009F20: BF0A4252
	s_cselect_b32 s20, s36, s60                                // 000000009F24: 85143C24
	v_readlane_b32 s82, v3, 7                                  // 000000009F28: D2890052 00010F03
	s_and_b32 s82, s82, 0xffffff                               // 000000009F30: 8652FF52 00FFFFFF
	s_cmp_lt_u32 s82, s66                                      // 000000009F38: BF0A4252
	s_cselect_b32 s21, s36, s60                                // 000000009F3C: 85153C24
	s_mov_b64 exec, s[20:21]                                   // 000000009F40: BEFE0114
	global_atomic_add_f32 v6, v97, s[8:9]                      // 000000009F44: DD348000 00086106
	global_atomic_add_f32 v6, v101, s[8:9] offset:256          // 000000009F4C: DD348100 00086506
	s_mov_b64 exec, s[36:37]                                   // 000000009F54: BEFE0124
	v_mov_b32_e32 v6, v70                                      // 000000009F58: 7E0C0346
	s_mov_b64 s[60:61], 0                                      // 000000009F5C: BEBC0180
	v_readlane_b32 s82, v3, 8                                  // 000000009F60: D2890052 00011103
	s_and_b32 s82, s82, 0xffffff                               // 000000009F68: 8652FF52 00FFFFFF
	s_cmp_lt_u32 s82, s66                                      // 000000009F70: BF0A4252
	s_cselect_b32 s20, s36, s60                                // 000000009F74: 85143C24
	v_readlane_b32 s82, v3, 9                                  // 000000009F78: D2890052 00011303
	s_and_b32 s82, s82, 0xffffff                               // 000000009F80: 8652FF52 00FFFFFF
	s_cmp_lt_u32 s82, s66                                      // 000000009F88: BF0A4252
	s_cselect_b32 s21, s36, s60                                // 000000009F8C: 85153C24
	s_mov_b64 exec, s[20:21]                                   // 000000009F90: BEFE0114
	global_atomic_add_f32 v6, v104, s[8:9]                     // 000000009F94: DD348000 00086806
	global_atomic_add_f32 v6, v108, s[8:9] offset:256          // 000000009F9C: DD348100 00086C06
	s_mov_b64 exec, s[36:37]                                   // 000000009FA4: BEFE0124
	v_mov_b32_e32 v6, v71                                      // 000000009FA8: 7E0C0347
	s_mov_b64 s[60:61], 0                                      // 000000009FAC: BEBC0180
	v_readlane_b32 s82, v3, 10                                 // 000000009FB0: D2890052 00011503
	s_and_b32 s82, s82, 0xffffff                               // 000000009FB8: 8652FF52 00FFFFFF
	s_cmp_lt_u32 s82, s66                                      // 000000009FC0: BF0A4252
	s_cselect_b32 s20, s36, s60                                // 000000009FC4: 85143C24
	v_readlane_b32 s82, v3, 11                                 // 000000009FC8: D2890052 00011703
	s_and_b32 s82, s82, 0xffffff                               // 000000009FD0: 8652FF52 00FFFFFF
	s_cmp_lt_u32 s82, s66                                      // 000000009FD8: BF0A4252
	s_cselect_b32 s21, s36, s60                                // 000000009FDC: 85153C24
	s_mov_b64 exec, s[20:21]                                   // 000000009FE0: BEFE0114
	global_atomic_add_f32 v6, v105, s[8:9]                     // 000000009FE4: DD348000 00086906
	global_atomic_add_f32 v6, v109, s[8:9] offset:256          // 000000009FEC: DD348100 00086D06
	s_mov_b64 exec, s[36:37]                                   // 000000009FF4: BEFE0124
	v_mov_b32_e32 v6, v72                                      // 000000009FF8: 7E0C0348
	s_mov_b64 s[60:61], 0                                      // 000000009FFC: BEBC0180
	v_readlane_b32 s82, v3, 12                                 // 00000000A000: D2890052 00011903
	s_and_b32 s82, s82, 0xffffff                               // 00000000A008: 8652FF52 00FFFFFF
	s_cmp_lt_u32 s82, s66                                      // 00000000A010: BF0A4252
	s_cselect_b32 s20, s36, s60                                // 00000000A014: 85143C24
	v_readlane_b32 s82, v3, 13                                 // 00000000A018: D2890052 00011B03
	s_and_b32 s82, s82, 0xffffff                               // 00000000A020: 8652FF52 00FFFFFF
	s_cmp_lt_u32 s82, s66                                      // 00000000A028: BF0A4252
	s_cselect_b32 s21, s36, s60                                // 00000000A02C: 85153C24
	s_mov_b64 exec, s[20:21]                                   // 00000000A030: BEFE0114
	global_atomic_add_f32 v6, v112, s[8:9]                     // 00000000A034: DD348000 00087006
	global_atomic_add_f32 v6, v116, s[8:9] offset:256          // 00000000A03C: DD348100 00087406
	s_mov_b64 exec, s[36:37]                                   // 00000000A044: BEFE0124
	v_mov_b32_e32 v6, v73                                      // 00000000A048: 7E0C0349
	s_mov_b64 s[60:61], 0                                      // 00000000A04C: BEBC0180
	v_readlane_b32 s82, v3, 14                                 // 00000000A050: D2890052 00011D03
	s_and_b32 s82, s82, 0xffffff                               // 00000000A058: 8652FF52 00FFFFFF
	s_cmp_lt_u32 s82, s66                                      // 00000000A060: BF0A4252
	s_cselect_b32 s20, s36, s60                                // 00000000A064: 85143C24
	v_readlane_b32 s82, v3, 15                                 // 00000000A068: D2890052 00011F03
	s_and_b32 s82, s82, 0xffffff                               // 00000000A070: 8652FF52 00FFFFFF
	s_cmp_lt_u32 s82, s66                                      // 00000000A078: BF0A4252
	s_cselect_b32 s21, s36, s60                                // 00000000A07C: 85153C24
	s_mov_b64 exec, s[20:21]                                   // 00000000A080: BEFE0114
	global_atomic_add_f32 v6, v113, s[8:9]                     // 00000000A084: DD348000 00087106
	global_atomic_add_f32 v6, v117, s[8:9] offset:256          // 00000000A08C: DD348100 00087506
	s_mov_b64 exec, s[36:37]                                   // 00000000A094: BEFE0124
	v_mov_b32_e32 v6, v74                                      // 00000000A098: 7E0C034A
	s_mov_b64 s[60:61], 0                                      // 00000000A09C: BEBC0180
	v_readlane_b32 s82, v3, 16                                 // 00000000A0A0: D2890052 00012103
	s_and_b32 s82, s82, 0xffffff                               // 00000000A0A8: 8652FF52 00FFFFFF
	s_cmp_lt_u32 s82, s66                                      // 00000000A0B0: BF0A4252
	s_cselect_b32 s20, s36, s60                                // 00000000A0B4: 85143C24
	v_readlane_b32 s82, v3, 17                                 // 00000000A0B8: D2890052 00012303
	s_and_b32 s82, s82, 0xffffff                               // 00000000A0C0: 8652FF52 00FFFFFF
	s_cmp_lt_u32 s82, s66                                      // 00000000A0C8: BF0A4252
	s_cselect_b32 s21, s36, s60                                // 00000000A0CC: 85153C24
	s_mov_b64 exec, s[20:21]                                   // 00000000A0D0: BEFE0114
	global_atomic_add_f32 v6, v120, s[8:9]                     // 00000000A0D4: DD348000 00087806
	global_atomic_add_f32 v6, v124, s[8:9] offset:256          // 00000000A0DC: DD348100 00087C06
	s_mov_b64 exec, s[36:37]                                   // 00000000A0E4: BEFE0124
	v_mov_b32_e32 v6, v75                                      // 00000000A0E8: 7E0C034B
	s_mov_b64 s[60:61], 0                                      // 00000000A0EC: BEBC0180
	v_readlane_b32 s82, v3, 18                                 // 00000000A0F0: D2890052 00012503
	s_and_b32 s82, s82, 0xffffff                               // 00000000A0F8: 8652FF52 00FFFFFF
	s_cmp_lt_u32 s82, s66                                      // 00000000A100: BF0A4252
	s_cselect_b32 s20, s36, s60                                // 00000000A104: 85143C24
	v_readlane_b32 s82, v3, 19                                 // 00000000A108: D2890052 00012703
	s_and_b32 s82, s82, 0xffffff                               // 00000000A110: 8652FF52 00FFFFFF
	s_cmp_lt_u32 s82, s66                                      // 00000000A118: BF0A4252
	s_cselect_b32 s21, s36, s60                                // 00000000A11C: 85153C24
	s_mov_b64 exec, s[20:21]                                   // 00000000A120: BEFE0114
	global_atomic_add_f32 v6, v121, s[8:9]                     // 00000000A124: DD348000 00087906
	global_atomic_add_f32 v6, v125, s[8:9] offset:256          // 00000000A12C: DD348100 00087D06
	s_mov_b64 exec, s[36:37]                                   // 00000000A134: BEFE0124
	v_mov_b32_e32 v6, v76                                      // 00000000A138: 7E0C034C
	s_mov_b64 s[60:61], 0                                      // 00000000A13C: BEBC0180
	v_readlane_b32 s82, v3, 20                                 // 00000000A140: D2890052 00012903
	s_and_b32 s82, s82, 0xffffff                               // 00000000A148: 8652FF52 00FFFFFF
	s_cmp_lt_u32 s82, s66                                      // 00000000A150: BF0A4252
	s_cselect_b32 s20, s36, s60                                // 00000000A154: 85143C24
	v_readlane_b32 s82, v3, 21                                 // 00000000A158: D2890052 00012B03
	s_and_b32 s82, s82, 0xffffff                               // 00000000A160: 8652FF52 00FFFFFF
	s_cmp_lt_u32 s82, s66                                      // 00000000A168: BF0A4252
	s_cselect_b32 s21, s36, s60                                // 00000000A16C: 85153C24
	s_mov_b64 exec, s[20:21]                                   // 00000000A170: BEFE0114
	global_atomic_add_f32 v6, v128, s[8:9]                     // 00000000A174: DD348000 00088006
	global_atomic_add_f32 v6, v132, s[8:9] offset:256          // 00000000A17C: DD348100 00088406
	s_mov_b64 exec, s[36:37]                                   // 00000000A184: BEFE0124
	v_mov_b32_e32 v6, v77                                      // 00000000A188: 7E0C034D
	s_mov_b64 s[60:61], 0                                      // 00000000A18C: BEBC0180
	v_readlane_b32 s82, v3, 22                                 // 00000000A190: D2890052 00012D03
	s_and_b32 s82, s82, 0xffffff                               // 00000000A198: 8652FF52 00FFFFFF
	s_cmp_lt_u32 s82, s66                                      // 00000000A1A0: BF0A4252
	s_cselect_b32 s20, s36, s60                                // 00000000A1A4: 85143C24
	v_readlane_b32 s82, v3, 23                                 // 00000000A1A8: D2890052 00012F03
	s_and_b32 s82, s82, 0xffffff                               // 00000000A1B0: 8652FF52 00FFFFFF
	s_cmp_lt_u32 s82, s66                                      // 00000000A1B8: BF0A4252
	s_cselect_b32 s21, s36, s60                                // 00000000A1BC: 85153C24
	s_mov_b64 exec, s[20:21]                                   // 00000000A1C0: BEFE0114
	global_atomic_add_f32 v6, v129, s[8:9]                     // 00000000A1C4: DD348000 00088106
	global_atomic_add_f32 v6, v133, s[8:9] offset:256          // 00000000A1CC: DD348100 00088506
	s_mov_b64 exec, s[36:37]                                   // 00000000A1D4: BEFE0124
	v_mov_b32_e32 v6, v78                                      // 00000000A1D8: 7E0C034E
	s_mov_b64 s[60:61], 0                                      // 00000000A1DC: BEBC0180
	v_readlane_b32 s82, v3, 24                                 // 00000000A1E0: D2890052 00013103
	s_and_b32 s82, s82, 0xffffff                               // 00000000A1E8: 8652FF52 00FFFFFF
	s_cmp_lt_u32 s82, s66                                      // 00000000A1F0: BF0A4252
	s_cselect_b32 s20, s36, s60                                // 00000000A1F4: 85143C24
	v_readlane_b32 s82, v3, 25                                 // 00000000A1F8: D2890052 00013303
	s_and_b32 s82, s82, 0xffffff                               // 00000000A200: 8652FF52 00FFFFFF
	s_cmp_lt_u32 s82, s66                                      // 00000000A208: BF0A4252
	s_cselect_b32 s21, s36, s60                                // 00000000A20C: 85153C24
	s_mov_b64 exec, s[20:21]                                   // 00000000A210: BEFE0114
	global_atomic_add_f32 v6, v136, s[8:9]                     // 00000000A214: DD348000 00088806
	global_atomic_add_f32 v6, v140, s[8:9] offset:256          // 00000000A21C: DD348100 00088C06
	s_mov_b64 exec, s[36:37]                                   // 00000000A224: BEFE0124
	v_mov_b32_e32 v6, v79                                      // 00000000A228: 7E0C034F
	s_mov_b64 s[60:61], 0                                      // 00000000A22C: BEBC0180
	v_readlane_b32 s82, v3, 26                                 // 00000000A230: D2890052 00013503
	s_and_b32 s82, s82, 0xffffff                               // 00000000A238: 8652FF52 00FFFFFF
	s_cmp_lt_u32 s82, s66                                      // 00000000A240: BF0A4252
	s_cselect_b32 s20, s36, s60                                // 00000000A244: 85143C24
	v_readlane_b32 s82, v3, 27                                 // 00000000A248: D2890052 00013703
	s_and_b32 s82, s82, 0xffffff                               // 00000000A250: 8652FF52 00FFFFFF
	s_cmp_lt_u32 s82, s66                                      // 00000000A258: BF0A4252
	s_cselect_b32 s21, s36, s60                                // 00000000A25C: 85153C24
	s_mov_b64 exec, s[20:21]                                   // 00000000A260: BEFE0114
	global_atomic_add_f32 v6, v137, s[8:9]                     // 00000000A264: DD348000 00088906
	global_atomic_add_f32 v6, v141, s[8:9] offset:256          // 00000000A26C: DD348100 00088D06
	s_mov_b64 exec, s[36:37]                                   // 00000000A274: BEFE0124
	v_mov_b32_e32 v6, v80                                      // 00000000A278: 7E0C0350
	s_mov_b64 s[60:61], 0                                      // 00000000A27C: BEBC0180
	v_readlane_b32 s82, v3, 28                                 // 00000000A280: D2890052 00013903
	s_and_b32 s82, s82, 0xffffff                               // 00000000A288: 8652FF52 00FFFFFF
	s_cmp_lt_u32 s82, s66                                      // 00000000A290: BF0A4252
	s_cselect_b32 s20, s36, s60                                // 00000000A294: 85143C24
	v_readlane_b32 s82, v3, 29                                 // 00000000A298: D2890052 00013B03
	s_and_b32 s82, s82, 0xffffff                               // 00000000A2A0: 8652FF52 00FFFFFF
	s_cmp_lt_u32 s82, s66                                      // 00000000A2A8: BF0A4252
	s_cselect_b32 s21, s36, s60                                // 00000000A2AC: 85153C24
	s_mov_b64 exec, s[20:21]                                   // 00000000A2B0: BEFE0114
	global_atomic_add_f32 v6, v144, s[8:9]                     // 00000000A2B4: DD348000 00089006
	global_atomic_add_f32 v6, v148, s[8:9] offset:256          // 00000000A2BC: DD348100 00089406
	s_mov_b64 exec, s[36:37]                                   // 00000000A2C4: BEFE0124
	v_mov_b32_e32 v6, v81                                      // 00000000A2C8: 7E0C0351
	s_mov_b64 s[60:61], 0                                      // 00000000A2CC: BEBC0180
	v_readlane_b32 s82, v3, 30                                 // 00000000A2D0: D2890052 00013D03
	s_and_b32 s82, s82, 0xffffff                               // 00000000A2D8: 8652FF52 00FFFFFF
	s_cmp_lt_u32 s82, s66                                      // 00000000A2E0: BF0A4252
	s_cselect_b32 s20, s36, s60                                // 00000000A2E4: 85143C24
	v_readlane_b32 s82, v3, 31                                 // 00000000A2E8: D2890052 00013F03
	s_and_b32 s82, s82, 0xffffff                               // 00000000A2F0: 8652FF52 00FFFFFF
	s_cmp_lt_u32 s82, s66                                      // 00000000A2F8: BF0A4252
	s_cselect_b32 s21, s36, s60                                // 00000000A2FC: 85153C24
	s_mov_b64 exec, s[20:21]                                   // 00000000A300: BEFE0114
	global_atomic_add_f32 v6, v145, s[8:9]                     // 00000000A304: DD348000 00089106
	global_atomic_add_f32 v6, v149, s[8:9] offset:256          // 00000000A30C: DD348100 00089506
	s_mov_b64 exec, s[36:37]                                   // 00000000A314: BEFE0124
	v_mov_b32_e32 v6, v82                                      // 00000000A318: 7E0C0352
	s_mov_b64 s[60:61], 0                                      // 00000000A31C: BEBC0180
	v_readlane_b32 s82, v3, 32                                 // 00000000A320: D2890052 00014103
	s_and_b32 s82, s82, 0xffffff                               // 00000000A328: 8652FF52 00FFFFFF
	s_cmp_lt_u32 s82, s66                                      // 00000000A330: BF0A4252
	s_cselect_b32 s20, s36, s60                                // 00000000A334: 85143C24
	v_readlane_b32 s82, v3, 33                                 // 00000000A338: D2890052 00014303
	s_and_b32 s82, s82, 0xffffff                               // 00000000A340: 8652FF52 00FFFFFF
	s_cmp_lt_u32 s82, s66                                      // 00000000A348: BF0A4252
	s_cselect_b32 s21, s36, s60                                // 00000000A34C: 85153C24
	s_mov_b64 exec, s[20:21]                                   // 00000000A350: BEFE0114
	global_atomic_add_f32 v6, v152, s[8:9]                     // 00000000A354: DD348000 00089806
	global_atomic_add_f32 v6, v156, s[8:9] offset:256          // 00000000A35C: DD348100 00089C06
	s_mov_b64 exec, s[36:37]                                   // 00000000A364: BEFE0124
	v_mov_b32_e32 v6, v83                                      // 00000000A368: 7E0C0353
	s_mov_b64 s[60:61], 0                                      // 00000000A36C: BEBC0180
	v_readlane_b32 s82, v3, 34                                 // 00000000A370: D2890052 00014503
	s_and_b32 s82, s82, 0xffffff                               // 00000000A378: 8652FF52 00FFFFFF
	s_cmp_lt_u32 s82, s66                                      // 00000000A380: BF0A4252
	s_cselect_b32 s20, s36, s60                                // 00000000A384: 85143C24
	v_readlane_b32 s82, v3, 35                                 // 00000000A388: D2890052 00014703
	s_and_b32 s82, s82, 0xffffff                               // 00000000A390: 8652FF52 00FFFFFF
	s_cmp_lt_u32 s82, s66                                      // 00000000A398: BF0A4252
	s_cselect_b32 s21, s36, s60                                // 00000000A39C: 85153C24
	s_mov_b64 exec, s[20:21]                                   // 00000000A3A0: BEFE0114
	global_atomic_add_f32 v6, v153, s[8:9]                     // 00000000A3A4: DD348000 00089906
	global_atomic_add_f32 v6, v157, s[8:9] offset:256          // 00000000A3AC: DD348100 00089D06
	s_mov_b64 exec, s[36:37]                                   // 00000000A3B4: BEFE0124
	ds_write_b64 v20, v[90:91]                                 // 00000000A3B8: D89A0000 00005A14
	ds_write_b64 v20, v[94:95] offset:4352                     // 00000000A3C0: D89A1100 00005E14
	ds_write_b64 v20, v[98:99] offset:8704                     // 00000000A3C8: D89A2200 00006214
	ds_write_b64 v20, v[102:103] offset:13056                  // 00000000A3D0: D89A3300 00006614
	ds_write_b64 v20, v[106:107] offset:17408                  // 00000000A3D8: D89A4400 00006A14
	ds_write_b64 v20, v[110:111] offset:21760                  // 00000000A3E0: D89A5500 00006E14
	ds_write_b64 v20, v[114:115] offset:26112                  // 00000000A3E8: D89A6600 00007214
	ds_write_b64 v20, v[118:119] offset:30464                  // 00000000A3F0: D89A7700 00007614
	ds_write_b64 v20, v[122:123] offset:34816                  // 00000000A3F8: D89A8800 00007A14
	ds_write_b64 v20, v[126:127] offset:2176                   // 00000000A400: D89A0880 00007E14
	ds_write_b64 v20, v[130:131] offset:6528                   // 00000000A408: D89A1980 00008214
	ds_write_b64 v20, v[134:135] offset:10880                  // 00000000A410: D89A2A80 00008614
	ds_write_b64 v20, v[138:139] offset:15232                  // 00000000A418: D89A3B80 00008A14
	ds_write_b64 v20, v[142:143] offset:19584                  // 00000000A420: D89A4C80 00008E14
	ds_write_b64 v20, v[146:147] offset:23936                  // 00000000A428: D89A5D80 00009214
	ds_write_b64 v20, v[150:151] offset:28288                  // 00000000A430: D89A6E80 00009614
	ds_write_b64 v20, v[154:155] offset:32640                  // 00000000A438: D89A7F80 00009A14
	ds_write_b64 v20, v[158:159] offset:36992                  // 00000000A440: D89A9080 00009E14
	s_waitcnt lgkmcnt(0)                                       // 00000000A448: BF8CC07F
	s_barrier                                                  // 00000000A44C: BF8A0000
	ds_read_b32 v90, v21                                       // 00000000A450: D86C0000 5A000015
	ds_read_b32 v91, v21 offset:64                             // 00000000A458: D86C0040 5B000015
	ds_read_b32 v94, v21 offset:2176                           // 00000000A460: D86C0880 5E000015
	ds_read_b32 v95, v21 offset:2240                           // 00000000A468: D86C08C0 5F000015
	ds_read_b32 v98, v21 offset:4352                           // 00000000A470: D86C1100 62000015
	ds_read_b32 v99, v21 offset:4416                           // 00000000A478: D86C1140 63000015
	ds_read_b32 v102, v21 offset:6528                          // 00000000A480: D86C1980 66000015
	ds_read_b32 v103, v21 offset:6592                          // 00000000A488: D86C19C0 67000015
	ds_read_b32 v106, v21 offset:8704                          // 00000000A490: D86C2200 6A000015
	ds_read_b32 v107, v21 offset:8768                          // 00000000A498: D86C2240 6B000015
	ds_read_b32 v110, v21 offset:10880                         // 00000000A4A0: D86C2A80 6E000015
	ds_read_b32 v111, v21 offset:10944                         // 00000000A4A8: D86C2AC0 6F000015
	ds_read_b32 v114, v21 offset:13056                         // 00000000A4B0: D86C3300 72000015
	ds_read_b32 v115, v21 offset:13120                         // 00000000A4B8: D86C3340 73000015
	ds_read_b32 v118, v21 offset:15232                         // 00000000A4C0: D86C3B80 76000015
	ds_read_b32 v119, v21 offset:15296                         // 00000000A4C8: D86C3BC0 77000015
	ds_read_b32 v122, v21 offset:17408                         // 00000000A4D0: D86C4400 7A000015
	ds_read_b32 v123, v21 offset:17472                         // 00000000A4D8: D86C4440 7B000015
	ds_read_b32 v126, v21 offset:19584                         // 00000000A4E0: D86C4C80 7E000015
	ds_read_b32 v127, v21 offset:19648                         // 00000000A4E8: D86C4CC0 7F000015
	ds_read_b32 v130, v21 offset:21760                         // 00000000A4F0: D86C5500 82000015
	ds_read_b32 v131, v21 offset:21824                         // 00000000A4F8: D86C5540 83000015
	ds_read_b32 v134, v21 offset:23936                         // 00000000A500: D86C5D80 86000015
	ds_read_b32 v135, v21 offset:24000                         // 00000000A508: D86C5DC0 87000015
	ds_read_b32 v138, v21 offset:26112                         // 00000000A510: D86C6600 8A000015
	ds_read_b32 v139, v21 offset:26176                         // 00000000A518: D86C6640 8B000015
	ds_read_b32 v142, v21 offset:28288                         // 00000000A520: D86C6E80 8E000015
	ds_read_b32 v143, v21 offset:28352                         // 00000000A528: D86C6EC0 8F000015
	ds_read_b32 v146, v21 offset:30464                         // 00000000A530: D86C7700 92000015
	ds_read_b32 v147, v21 offset:30528                         // 00000000A538: D86C7740 93000015
	ds_read_b32 v150, v21 offset:32640                         // 00000000A540: D86C7F80 96000015
	ds_read_b32 v151, v21 offset:32704                         // 00000000A548: D86C7FC0 97000015
	ds_read_b32 v154, v21 offset:34816                         // 00000000A550: D86C8800 9A000015
	ds_read_b32 v155, v21 offset:34880                         // 00000000A558: D86C8840 9B000015
	ds_read_b32 v158, v21 offset:36992                         // 00000000A560: D86C9080 9E000015
	ds_read_b32 v159, v21 offset:37056                         // 00000000A568: D86C90C0 9F000015
	s_waitcnt lgkmcnt(0)                                       // 00000000A570: BF8CC07F
	v_mov_b32_e32 v7, 0                                        // 00000000A574: 7E0E0280
	s_mov_b64 exec, s[36:37]                                   // 00000000A578: BEFE0124
	v_mov_b32_e32 v6, v66                                      // 00000000A57C: 7E0C0342
	s_mov_b64 s[60:61], 0                                      // 00000000A580: BEBC0180
	v_readlane_b32 s82, v3, 0                                  // 00000000A584: D2890052 00010103
	s_and_b32 s82, s82, 0xffffff                               // 00000000A58C: 8652FF52 00FFFFFF
	s_cmp_lt_u32 s82, s66                                      // 00000000A594: BF0A4252
	s_cselect_b32 s20, s36, s60                                // 00000000A598: 85143C24
	v_readlane_b32 s82, v3, 1                                  // 00000000A59C: D2890052 00010303
	s_and_b32 s82, s82, 0xffffff                               // 00000000A5A4: 8652FF52 00FFFFFF
	s_cmp_lt_u32 s82, s66                                      // 00000000A5AC: BF0A4252
	s_cselect_b32 s21, s36, s60                                // 00000000A5B0: 85153C24
	s_mov_b64 exec, s[20:21]                                   // 00000000A5B4: BEFE0114
	global_atomic_add_f32 v6, v90, s[8:9] offset:8             // 00000000A5B8: DD348008 00085A06
	global_atomic_add_f32 v6, v94, s[8:9] offset:264           // 00000000A5C0: DD348108 00085E06
	s_mov_b64 exec, s[36:37]                                   // 00000000A5C8: BEFE0124
	v_mov_b32_e32 v6, v67                                      // 00000000A5CC: 7E0C0343
	s_mov_b64 s[60:61], 0                                      // 00000000A5D0: BEBC0180
	v_readlane_b32 s82, v3, 2                                  // 00000000A5D4: D2890052 00010503
	s_and_b32 s82, s82, 0xffffff                               // 00000000A5DC: 8652FF52 00FFFFFF
	s_cmp_lt_u32 s82, s66                                      // 00000000A5E4: BF0A4252
	s_cselect_b32 s20, s36, s60                                // 00000000A5E8: 85143C24
	v_readlane_b32 s82, v3, 3                                  // 00000000A5EC: D2890052 00010703
	s_and_b32 s82, s82, 0xffffff                               // 00000000A5F4: 8652FF52 00FFFFFF
	s_cmp_lt_u32 s82, s66                                      // 00000000A5FC: BF0A4252
	s_cselect_b32 s21, s36, s60                                // 00000000A600: 85153C24
	s_mov_b64 exec, s[20:21]                                   // 00000000A604: BEFE0114
	global_atomic_add_f32 v6, v91, s[8:9] offset:8             // 00000000A608: DD348008 00085B06
	global_atomic_add_f32 v6, v95, s[8:9] offset:264           // 00000000A610: DD348108 00085F06
	s_mov_b64 exec, s[36:37]                                   // 00000000A618: BEFE0124
	v_mov_b32_e32 v6, v68                                      // 00000000A61C: 7E0C0344
	s_mov_b64 s[60:61], 0                                      // 00000000A620: BEBC0180
	v_readlane_b32 s82, v3, 4                                  // 00000000A624: D2890052 00010903
	s_and_b32 s82, s82, 0xffffff                               // 00000000A62C: 8652FF52 00FFFFFF
	s_cmp_lt_u32 s82, s66                                      // 00000000A634: BF0A4252
	s_cselect_b32 s20, s36, s60                                // 00000000A638: 85143C24
	v_readlane_b32 s82, v3, 5                                  // 00000000A63C: D2890052 00010B03
	s_and_b32 s82, s82, 0xffffff                               // 00000000A644: 8652FF52 00FFFFFF
	s_cmp_lt_u32 s82, s66                                      // 00000000A64C: BF0A4252
	s_cselect_b32 s21, s36, s60                                // 00000000A650: 85153C24
	s_mov_b64 exec, s[20:21]                                   // 00000000A654: BEFE0114
	global_atomic_add_f32 v6, v98, s[8:9] offset:8             // 00000000A658: DD348008 00086206
	global_atomic_add_f32 v6, v102, s[8:9] offset:264          // 00000000A660: DD348108 00086606
	s_mov_b64 exec, s[36:37]                                   // 00000000A668: BEFE0124
	v_mov_b32_e32 v6, v69                                      // 00000000A66C: 7E0C0345
	s_mov_b64 s[60:61], 0                                      // 00000000A670: BEBC0180
	v_readlane_b32 s82, v3, 6                                  // 00000000A674: D2890052 00010D03
	s_and_b32 s82, s82, 0xffffff                               // 00000000A67C: 8652FF52 00FFFFFF
	s_cmp_lt_u32 s82, s66                                      // 00000000A684: BF0A4252
	s_cselect_b32 s20, s36, s60                                // 00000000A688: 85143C24
	v_readlane_b32 s82, v3, 7                                  // 00000000A68C: D2890052 00010F03
	s_and_b32 s82, s82, 0xffffff                               // 00000000A694: 8652FF52 00FFFFFF
	s_cmp_lt_u32 s82, s66                                      // 00000000A69C: BF0A4252
	s_cselect_b32 s21, s36, s60                                // 00000000A6A0: 85153C24
	s_mov_b64 exec, s[20:21]                                   // 00000000A6A4: BEFE0114
	global_atomic_add_f32 v6, v99, s[8:9] offset:8             // 00000000A6A8: DD348008 00086306
	global_atomic_add_f32 v6, v103, s[8:9] offset:264          // 00000000A6B0: DD348108 00086706
	s_mov_b64 exec, s[36:37]                                   // 00000000A6B8: BEFE0124
	v_mov_b32_e32 v6, v70                                      // 00000000A6BC: 7E0C0346
	s_mov_b64 s[60:61], 0                                      // 00000000A6C0: BEBC0180
	v_readlane_b32 s82, v3, 8                                  // 00000000A6C4: D2890052 00011103
	s_and_b32 s82, s82, 0xffffff                               // 00000000A6CC: 8652FF52 00FFFFFF
	s_cmp_lt_u32 s82, s66                                      // 00000000A6D4: BF0A4252
	s_cselect_b32 s20, s36, s60                                // 00000000A6D8: 85143C24
	v_readlane_b32 s82, v3, 9                                  // 00000000A6DC: D2890052 00011303
	s_and_b32 s82, s82, 0xffffff                               // 00000000A6E4: 8652FF52 00FFFFFF
	s_cmp_lt_u32 s82, s66                                      // 00000000A6EC: BF0A4252
	s_cselect_b32 s21, s36, s60                                // 00000000A6F0: 85153C24
	s_mov_b64 exec, s[20:21]                                   // 00000000A6F4: BEFE0114
	global_atomic_add_f32 v6, v106, s[8:9] offset:8            // 00000000A6F8: DD348008 00086A06
	global_atomic_add_f32 v6, v110, s[8:9] offset:264          // 00000000A700: DD348108 00086E06
	s_mov_b64 exec, s[36:37]                                   // 00000000A708: BEFE0124
	v_mov_b32_e32 v6, v71                                      // 00000000A70C: 7E0C0347
	s_mov_b64 s[60:61], 0                                      // 00000000A710: BEBC0180
	v_readlane_b32 s82, v3, 10                                 // 00000000A714: D2890052 00011503
	s_and_b32 s82, s82, 0xffffff                               // 00000000A71C: 8652FF52 00FFFFFF
	s_cmp_lt_u32 s82, s66                                      // 00000000A724: BF0A4252
	s_cselect_b32 s20, s36, s60                                // 00000000A728: 85143C24
	v_readlane_b32 s82, v3, 11                                 // 00000000A72C: D2890052 00011703
	s_and_b32 s82, s82, 0xffffff                               // 00000000A734: 8652FF52 00FFFFFF
	s_cmp_lt_u32 s82, s66                                      // 00000000A73C: BF0A4252
	s_cselect_b32 s21, s36, s60                                // 00000000A740: 85153C24
	s_mov_b64 exec, s[20:21]                                   // 00000000A744: BEFE0114
	global_atomic_add_f32 v6, v107, s[8:9] offset:8            // 00000000A748: DD348008 00086B06
	global_atomic_add_f32 v6, v111, s[8:9] offset:264          // 00000000A750: DD348108 00086F06
	s_mov_b64 exec, s[36:37]                                   // 00000000A758: BEFE0124
	v_mov_b32_e32 v6, v72                                      // 00000000A75C: 7E0C0348
	s_mov_b64 s[60:61], 0                                      // 00000000A760: BEBC0180
	v_readlane_b32 s82, v3, 12                                 // 00000000A764: D2890052 00011903
	s_and_b32 s82, s82, 0xffffff                               // 00000000A76C: 8652FF52 00FFFFFF
	s_cmp_lt_u32 s82, s66                                      // 00000000A774: BF0A4252
	s_cselect_b32 s20, s36, s60                                // 00000000A778: 85143C24
	v_readlane_b32 s82, v3, 13                                 // 00000000A77C: D2890052 00011B03
	s_and_b32 s82, s82, 0xffffff                               // 00000000A784: 8652FF52 00FFFFFF
	s_cmp_lt_u32 s82, s66                                      // 00000000A78C: BF0A4252
	s_cselect_b32 s21, s36, s60                                // 00000000A790: 85153C24
	s_mov_b64 exec, s[20:21]                                   // 00000000A794: BEFE0114
	global_atomic_add_f32 v6, v114, s[8:9] offset:8            // 00000000A798: DD348008 00087206
	global_atomic_add_f32 v6, v118, s[8:9] offset:264          // 00000000A7A0: DD348108 00087606
	s_mov_b64 exec, s[36:37]                                   // 00000000A7A8: BEFE0124
	v_mov_b32_e32 v6, v73                                      // 00000000A7AC: 7E0C0349
	s_mov_b64 s[60:61], 0                                      // 00000000A7B0: BEBC0180
	v_readlane_b32 s82, v3, 14                                 // 00000000A7B4: D2890052 00011D03
	s_and_b32 s82, s82, 0xffffff                               // 00000000A7BC: 8652FF52 00FFFFFF
	s_cmp_lt_u32 s82, s66                                      // 00000000A7C4: BF0A4252
	s_cselect_b32 s20, s36, s60                                // 00000000A7C8: 85143C24
	v_readlane_b32 s82, v3, 15                                 // 00000000A7CC: D2890052 00011F03
	s_and_b32 s82, s82, 0xffffff                               // 00000000A7D4: 8652FF52 00FFFFFF
	s_cmp_lt_u32 s82, s66                                      // 00000000A7DC: BF0A4252
	s_cselect_b32 s21, s36, s60                                // 00000000A7E0: 85153C24
	s_mov_b64 exec, s[20:21]                                   // 00000000A7E4: BEFE0114
	global_atomic_add_f32 v6, v115, s[8:9] offset:8            // 00000000A7E8: DD348008 00087306
	global_atomic_add_f32 v6, v119, s[8:9] offset:264          // 00000000A7F0: DD348108 00087706
	s_mov_b64 exec, s[36:37]                                   // 00000000A7F8: BEFE0124
	v_mov_b32_e32 v6, v74                                      // 00000000A7FC: 7E0C034A
	s_mov_b64 s[60:61], 0                                      // 00000000A800: BEBC0180
	v_readlane_b32 s82, v3, 16                                 // 00000000A804: D2890052 00012103
	s_and_b32 s82, s82, 0xffffff                               // 00000000A80C: 8652FF52 00FFFFFF
	s_cmp_lt_u32 s82, s66                                      // 00000000A814: BF0A4252
	s_cselect_b32 s20, s36, s60                                // 00000000A818: 85143C24
	v_readlane_b32 s82, v3, 17                                 // 00000000A81C: D2890052 00012303
	s_and_b32 s82, s82, 0xffffff                               // 00000000A824: 8652FF52 00FFFFFF
	s_cmp_lt_u32 s82, s66                                      // 00000000A82C: BF0A4252
	s_cselect_b32 s21, s36, s60                                // 00000000A830: 85153C24
	s_mov_b64 exec, s[20:21]                                   // 00000000A834: BEFE0114
	global_atomic_add_f32 v6, v122, s[8:9] offset:8            // 00000000A838: DD348008 00087A06
	global_atomic_add_f32 v6, v126, s[8:9] offset:264          // 00000000A840: DD348108 00087E06
	s_mov_b64 exec, s[36:37]                                   // 00000000A848: BEFE0124
	v_mov_b32_e32 v6, v75                                      // 00000000A84C: 7E0C034B
	s_mov_b64 s[60:61], 0                                      // 00000000A850: BEBC0180
	v_readlane_b32 s82, v3, 18                                 // 00000000A854: D2890052 00012503
	s_and_b32 s82, s82, 0xffffff                               // 00000000A85C: 8652FF52 00FFFFFF
	s_cmp_lt_u32 s82, s66                                      // 00000000A864: BF0A4252
	s_cselect_b32 s20, s36, s60                                // 00000000A868: 85143C24
	v_readlane_b32 s82, v3, 19                                 // 00000000A86C: D2890052 00012703
	s_and_b32 s82, s82, 0xffffff                               // 00000000A874: 8652FF52 00FFFFFF
	s_cmp_lt_u32 s82, s66                                      // 00000000A87C: BF0A4252
	s_cselect_b32 s21, s36, s60                                // 00000000A880: 85153C24
	s_mov_b64 exec, s[20:21]                                   // 00000000A884: BEFE0114
	global_atomic_add_f32 v6, v123, s[8:9] offset:8            // 00000000A888: DD348008 00087B06
	global_atomic_add_f32 v6, v127, s[8:9] offset:264          // 00000000A890: DD348108 00087F06
	s_mov_b64 exec, s[36:37]                                   // 00000000A898: BEFE0124
	v_mov_b32_e32 v6, v76                                      // 00000000A89C: 7E0C034C
	s_mov_b64 s[60:61], 0                                      // 00000000A8A0: BEBC0180
	v_readlane_b32 s82, v3, 20                                 // 00000000A8A4: D2890052 00012903
	s_and_b32 s82, s82, 0xffffff                               // 00000000A8AC: 8652FF52 00FFFFFF
	s_cmp_lt_u32 s82, s66                                      // 00000000A8B4: BF0A4252
	s_cselect_b32 s20, s36, s60                                // 00000000A8B8: 85143C24
	v_readlane_b32 s82, v3, 21                                 // 00000000A8BC: D2890052 00012B03
	s_and_b32 s82, s82, 0xffffff                               // 00000000A8C4: 8652FF52 00FFFFFF
	s_cmp_lt_u32 s82, s66                                      // 00000000A8CC: BF0A4252
	s_cselect_b32 s21, s36, s60                                // 00000000A8D0: 85153C24
	s_mov_b64 exec, s[20:21]                                   // 00000000A8D4: BEFE0114
	global_atomic_add_f32 v6, v130, s[8:9] offset:8            // 00000000A8D8: DD348008 00088206
	global_atomic_add_f32 v6, v134, s[8:9] offset:264          // 00000000A8E0: DD348108 00088606
	s_mov_b64 exec, s[36:37]                                   // 00000000A8E8: BEFE0124
	v_mov_b32_e32 v6, v77                                      // 00000000A8EC: 7E0C034D
	s_mov_b64 s[60:61], 0                                      // 00000000A8F0: BEBC0180
	v_readlane_b32 s82, v3, 22                                 // 00000000A8F4: D2890052 00012D03
	s_and_b32 s82, s82, 0xffffff                               // 00000000A8FC: 8652FF52 00FFFFFF
	s_cmp_lt_u32 s82, s66                                      // 00000000A904: BF0A4252
	s_cselect_b32 s20, s36, s60                                // 00000000A908: 85143C24
	v_readlane_b32 s82, v3, 23                                 // 00000000A90C: D2890052 00012F03
	s_and_b32 s82, s82, 0xffffff                               // 00000000A914: 8652FF52 00FFFFFF
	s_cmp_lt_u32 s82, s66                                      // 00000000A91C: BF0A4252
	s_cselect_b32 s21, s36, s60                                // 00000000A920: 85153C24
	s_mov_b64 exec, s[20:21]                                   // 00000000A924: BEFE0114
	global_atomic_add_f32 v6, v131, s[8:9] offset:8            // 00000000A928: DD348008 00088306
	global_atomic_add_f32 v6, v135, s[8:9] offset:264          // 00000000A930: DD348108 00088706
	s_mov_b64 exec, s[36:37]                                   // 00000000A938: BEFE0124
	v_mov_b32_e32 v6, v78                                      // 00000000A93C: 7E0C034E
	s_mov_b64 s[60:61], 0                                      // 00000000A940: BEBC0180
	v_readlane_b32 s82, v3, 24                                 // 00000000A944: D2890052 00013103
	s_and_b32 s82, s82, 0xffffff                               // 00000000A94C: 8652FF52 00FFFFFF
	s_cmp_lt_u32 s82, s66                                      // 00000000A954: BF0A4252
	s_cselect_b32 s20, s36, s60                                // 00000000A958: 85143C24
	v_readlane_b32 s82, v3, 25                                 // 00000000A95C: D2890052 00013303
	s_and_b32 s82, s82, 0xffffff                               // 00000000A964: 8652FF52 00FFFFFF
	s_cmp_lt_u32 s82, s66                                      // 00000000A96C: BF0A4252
	s_cselect_b32 s21, s36, s60                                // 00000000A970: 85153C24
	s_mov_b64 exec, s[20:21]                                   // 00000000A974: BEFE0114
	global_atomic_add_f32 v6, v138, s[8:9] offset:8            // 00000000A978: DD348008 00088A06
	global_atomic_add_f32 v6, v142, s[8:9] offset:264          // 00000000A980: DD348108 00088E06
	s_mov_b64 exec, s[36:37]                                   // 00000000A988: BEFE0124
	v_mov_b32_e32 v6, v79                                      // 00000000A98C: 7E0C034F
	s_mov_b64 s[60:61], 0                                      // 00000000A990: BEBC0180
	v_readlane_b32 s82, v3, 26                                 // 00000000A994: D2890052 00013503
	s_and_b32 s82, s82, 0xffffff                               // 00000000A99C: 8652FF52 00FFFFFF
	s_cmp_lt_u32 s82, s66                                      // 00000000A9A4: BF0A4252
	s_cselect_b32 s20, s36, s60                                // 00000000A9A8: 85143C24
	v_readlane_b32 s82, v3, 27                                 // 00000000A9AC: D2890052 00013703
	s_and_b32 s82, s82, 0xffffff                               // 00000000A9B4: 8652FF52 00FFFFFF
	s_cmp_lt_u32 s82, s66                                      // 00000000A9BC: BF0A4252
	s_cselect_b32 s21, s36, s60                                // 00000000A9C0: 85153C24
	s_mov_b64 exec, s[20:21]                                   // 00000000A9C4: BEFE0114
	global_atomic_add_f32 v6, v139, s[8:9] offset:8            // 00000000A9C8: DD348008 00088B06
	global_atomic_add_f32 v6, v143, s[8:9] offset:264          // 00000000A9D0: DD348108 00088F06
	s_mov_b64 exec, s[36:37]                                   // 00000000A9D8: BEFE0124
	v_mov_b32_e32 v6, v80                                      // 00000000A9DC: 7E0C0350
	s_mov_b64 s[60:61], 0                                      // 00000000A9E0: BEBC0180
	v_readlane_b32 s82, v3, 28                                 // 00000000A9E4: D2890052 00013903
	s_and_b32 s82, s82, 0xffffff                               // 00000000A9EC: 8652FF52 00FFFFFF
	s_cmp_lt_u32 s82, s66                                      // 00000000A9F4: BF0A4252
	s_cselect_b32 s20, s36, s60                                // 00000000A9F8: 85143C24
	v_readlane_b32 s82, v3, 29                                 // 00000000A9FC: D2890052 00013B03
	s_and_b32 s82, s82, 0xffffff                               // 00000000AA04: 8652FF52 00FFFFFF
	s_cmp_lt_u32 s82, s66                                      // 00000000AA0C: BF0A4252
	s_cselect_b32 s21, s36, s60                                // 00000000AA10: 85153C24
	s_mov_b64 exec, s[20:21]                                   // 00000000AA14: BEFE0114
	global_atomic_add_f32 v6, v146, s[8:9] offset:8            // 00000000AA18: DD348008 00089206
	global_atomic_add_f32 v6, v150, s[8:9] offset:264          // 00000000AA20: DD348108 00089606
	s_mov_b64 exec, s[36:37]                                   // 00000000AA28: BEFE0124
	v_mov_b32_e32 v6, v81                                      // 00000000AA2C: 7E0C0351
	s_mov_b64 s[60:61], 0                                      // 00000000AA30: BEBC0180
	v_readlane_b32 s82, v3, 30                                 // 00000000AA34: D2890052 00013D03
	s_and_b32 s82, s82, 0xffffff                               // 00000000AA3C: 8652FF52 00FFFFFF
	s_cmp_lt_u32 s82, s66                                      // 00000000AA44: BF0A4252
	s_cselect_b32 s20, s36, s60                                // 00000000AA48: 85143C24
	v_readlane_b32 s82, v3, 31                                 // 00000000AA4C: D2890052 00013F03
	s_and_b32 s82, s82, 0xffffff                               // 00000000AA54: 8652FF52 00FFFFFF
	s_cmp_lt_u32 s82, s66                                      // 00000000AA5C: BF0A4252
	s_cselect_b32 s21, s36, s60                                // 00000000AA60: 85153C24
	s_mov_b64 exec, s[20:21]                                   // 00000000AA64: BEFE0114
	global_atomic_add_f32 v6, v147, s[8:9] offset:8            // 00000000AA68: DD348008 00089306
	global_atomic_add_f32 v6, v151, s[8:9] offset:264          // 00000000AA70: DD348108 00089706
	s_mov_b64 exec, s[36:37]                                   // 00000000AA78: BEFE0124
	v_mov_b32_e32 v6, v82                                      // 00000000AA7C: 7E0C0352
	s_mov_b64 s[60:61], 0                                      // 00000000AA80: BEBC0180
	v_readlane_b32 s82, v3, 32                                 // 00000000AA84: D2890052 00014103
	s_and_b32 s82, s82, 0xffffff                               // 00000000AA8C: 8652FF52 00FFFFFF
	s_cmp_lt_u32 s82, s66                                      // 00000000AA94: BF0A4252
	s_cselect_b32 s20, s36, s60                                // 00000000AA98: 85143C24
	v_readlane_b32 s82, v3, 33                                 // 00000000AA9C: D2890052 00014303
	s_and_b32 s82, s82, 0xffffff                               // 00000000AAA4: 8652FF52 00FFFFFF
	s_cmp_lt_u32 s82, s66                                      // 00000000AAAC: BF0A4252
	s_cselect_b32 s21, s36, s60                                // 00000000AAB0: 85153C24
	s_mov_b64 exec, s[20:21]                                   // 00000000AAB4: BEFE0114
	global_atomic_add_f32 v6, v154, s[8:9] offset:8            // 00000000AAB8: DD348008 00089A06
	global_atomic_add_f32 v6, v158, s[8:9] offset:264          // 00000000AAC0: DD348108 00089E06
	s_mov_b64 exec, s[36:37]                                   // 00000000AAC8: BEFE0124
	v_mov_b32_e32 v6, v83                                      // 00000000AACC: 7E0C0353
	s_mov_b64 s[60:61], 0                                      // 00000000AAD0: BEBC0180
	v_readlane_b32 s82, v3, 34                                 // 00000000AAD4: D2890052 00014503
	s_and_b32 s82, s82, 0xffffff                               // 00000000AADC: 8652FF52 00FFFFFF
	s_cmp_lt_u32 s82, s66                                      // 00000000AAE4: BF0A4252
	s_cselect_b32 s20, s36, s60                                // 00000000AAE8: 85143C24
	v_readlane_b32 s82, v3, 35                                 // 00000000AAEC: D2890052 00014703
	s_and_b32 s82, s82, 0xffffff                               // 00000000AAF4: 8652FF52 00FFFFFF
	s_cmp_lt_u32 s82, s66                                      // 00000000AAFC: BF0A4252
	s_cselect_b32 s21, s36, s60                                // 00000000AB00: 85153C24
	s_mov_b64 exec, s[20:21]                                   // 00000000AB04: BEFE0114
	global_atomic_add_f32 v6, v155, s[8:9] offset:8            // 00000000AB08: DD348008 00089B06
	global_atomic_add_f32 v6, v159, s[8:9] offset:264          // 00000000AB10: DD348108 00089F06
	s_mov_b64 exec, s[36:37]                                   // 00000000AB18: BEFE0124
	ds_write_b64 v20, v[160:161]                               // 00000000AB1C: D89A0000 0000A014
	ds_write_b64 v20, v[164:165] offset:4352                   // 00000000AB24: D89A1100 0000A414
	ds_write_b64 v20, v[168:169] offset:8704                   // 00000000AB2C: D89A2200 0000A814
	ds_write_b64 v20, v[172:173] offset:13056                  // 00000000AB34: D89A3300 0000AC14
	ds_write_b64 v20, v[176:177] offset:17408                  // 00000000AB3C: D89A4400 0000B014
	ds_write_b64 v20, v[180:181] offset:21760                  // 00000000AB44: D89A5500 0000B414
	ds_write_b64 v20, v[184:185] offset:26112                  // 00000000AB4C: D89A6600 0000B814
	ds_write_b64 v20, v[188:189] offset:30464                  // 00000000AB54: D89A7700 0000BC14
	ds_write_b64 v20, v[192:193] offset:34816                  // 00000000AB5C: D89A8800 0000C014
	ds_write_b64 v20, v[196:197] offset:2176                   // 00000000AB64: D89A0880 0000C414
	ds_write_b64 v20, v[200:201] offset:6528                   // 00000000AB6C: D89A1980 0000C814
	ds_write_b64 v20, v[204:205] offset:10880                  // 00000000AB74: D89A2A80 0000CC14
	ds_write_b64 v20, v[208:209] offset:15232                  // 00000000AB7C: D89A3B80 0000D014
	ds_write_b64 v20, v[212:213] offset:19584                  // 00000000AB84: D89A4C80 0000D414
	ds_write_b64 v20, v[216:217] offset:23936                  // 00000000AB8C: D89A5D80 0000D814
	ds_write_b64 v20, v[220:221] offset:28288                  // 00000000AB94: D89A6E80 0000DC14
	ds_write_b64 v20, v[224:225] offset:32640                  // 00000000AB9C: D89A7F80 0000E014
	ds_write_b64 v20, v[228:229] offset:36992                  // 00000000ABA4: D89A9080 0000E414
	s_waitcnt lgkmcnt(0)                                       // 00000000ABAC: BF8CC07F
	s_barrier                                                  // 00000000ABB0: BF8A0000
	ds_read_b32 v160, v21                                      // 00000000ABB4: D86C0000 A0000015
	ds_read_b32 v161, v21 offset:64                            // 00000000ABBC: D86C0040 A1000015
	ds_read_b32 v164, v21 offset:2176                          // 00000000ABC4: D86C0880 A4000015
	ds_read_b32 v165, v21 offset:2240                          // 00000000ABCC: D86C08C0 A5000015
	ds_read_b32 v168, v21 offset:4352                          // 00000000ABD4: D86C1100 A8000015
	ds_read_b32 v169, v21 offset:4416                          // 00000000ABDC: D86C1140 A9000015
	ds_read_b32 v172, v21 offset:6528                          // 00000000ABE4: D86C1980 AC000015
	ds_read_b32 v173, v21 offset:6592                          // 00000000ABEC: D86C19C0 AD000015
	ds_read_b32 v176, v21 offset:8704                          // 00000000ABF4: D86C2200 B0000015
	ds_read_b32 v177, v21 offset:8768                          // 00000000ABFC: D86C2240 B1000015
	ds_read_b32 v180, v21 offset:10880                         // 00000000AC04: D86C2A80 B4000015
	ds_read_b32 v181, v21 offset:10944                         // 00000000AC0C: D86C2AC0 B5000015
	ds_read_b32 v184, v21 offset:13056                         // 00000000AC14: D86C3300 B8000015
	ds_read_b32 v185, v21 offset:13120                         // 00000000AC1C: D86C3340 B9000015
	ds_read_b32 v188, v21 offset:15232                         // 00000000AC24: D86C3B80 BC000015
	ds_read_b32 v189, v21 offset:15296                         // 00000000AC2C: D86C3BC0 BD000015
	ds_read_b32 v192, v21 offset:17408                         // 00000000AC34: D86C4400 C0000015
	ds_read_b32 v193, v21 offset:17472                         // 00000000AC3C: D86C4440 C1000015
	ds_read_b32 v196, v21 offset:19584                         // 00000000AC44: D86C4C80 C4000015
	ds_read_b32 v197, v21 offset:19648                         // 00000000AC4C: D86C4CC0 C5000015
	ds_read_b32 v200, v21 offset:21760                         // 00000000AC54: D86C5500 C8000015
	ds_read_b32 v201, v21 offset:21824                         // 00000000AC5C: D86C5540 C9000015
	ds_read_b32 v204, v21 offset:23936                         // 00000000AC64: D86C5D80 CC000015
	ds_read_b32 v205, v21 offset:24000                         // 00000000AC6C: D86C5DC0 CD000015
	ds_read_b32 v208, v21 offset:26112                         // 00000000AC74: D86C6600 D0000015
	ds_read_b32 v209, v21 offset:26176                         // 00000000AC7C: D86C6640 D1000015
	ds_read_b32 v212, v21 offset:28288                         // 00000000AC84: D86C6E80 D4000015
	ds_read_b32 v213, v21 offset:28352                         // 00000000AC8C: D86C6EC0 D5000015
	ds_read_b32 v216, v21 offset:30464                         // 00000000AC94: D86C7700 D8000015
	ds_read_b32 v217, v21 offset:30528                         // 00000000AC9C: D86C7740 D9000015
	ds_read_b32 v220, v21 offset:32640                         // 00000000ACA4: D86C7F80 DC000015
	ds_read_b32 v221, v21 offset:32704                         // 00000000ACAC: D86C7FC0 DD000015
	ds_read_b32 v224, v21 offset:34816                         // 00000000ACB4: D86C8800 E0000015
	ds_read_b32 v225, v21 offset:34880                         // 00000000ACBC: D86C8840 E1000015
	ds_read_b32 v228, v21 offset:36992                         // 00000000ACC4: D86C9080 E4000015
	ds_read_b32 v229, v21 offset:37056                         // 00000000ACCC: D86C90C0 E5000015
	s_mul_i32 s60, s65, 4                                      // 00000000ACD4: 923C8441
	s_add_u32 s8, s60, s8                                      // 00000000ACD8: 8008083C
	s_addc_u32 s9, 0, s9                                       // 00000000ACDC: 82090980
	s_waitcnt lgkmcnt(0)                                       // 00000000ACE0: BF8CC07F
	v_mov_b32_e32 v7, 0                                        // 00000000ACE4: 7E0E0280
	s_mov_b64 exec, s[36:37]                                   // 00000000ACE8: BEFE0124
	v_mov_b32_e32 v6, v66                                      // 00000000ACEC: 7E0C0342
	s_mov_b64 s[60:61], 0                                      // 00000000ACF0: BEBC0180
	v_readlane_b32 s82, v3, 0                                  // 00000000ACF4: D2890052 00010103
	s_and_b32 s82, s82, 0xffffff                               // 00000000ACFC: 8652FF52 00FFFFFF
	s_cmp_lt_u32 s82, s66                                      // 00000000AD04: BF0A4252
	s_cselect_b32 s20, s36, s60                                // 00000000AD08: 85143C24
	v_readlane_b32 s82, v3, 1                                  // 00000000AD0C: D2890052 00010303
	s_and_b32 s82, s82, 0xffffff                               // 00000000AD14: 8652FF52 00FFFFFF
	s_cmp_lt_u32 s82, s66                                      // 00000000AD1C: BF0A4252
	s_cselect_b32 s21, s36, s60                                // 00000000AD20: 85153C24
	s_mov_b64 exec, s[20:21]                                   // 00000000AD24: BEFE0114
	global_atomic_add_f32 v6, v160, s[8:9]                     // 00000000AD28: DD348000 0008A006
	global_atomic_add_f32 v6, v164, s[8:9] offset:256          // 00000000AD30: DD348100 0008A406
	s_mov_b64 exec, s[36:37]                                   // 00000000AD38: BEFE0124
	v_mov_b32_e32 v6, v67                                      // 00000000AD3C: 7E0C0343
	s_mov_b64 s[60:61], 0                                      // 00000000AD40: BEBC0180
	v_readlane_b32 s82, v3, 2                                  // 00000000AD44: D2890052 00010503
	s_and_b32 s82, s82, 0xffffff                               // 00000000AD4C: 8652FF52 00FFFFFF
	s_cmp_lt_u32 s82, s66                                      // 00000000AD54: BF0A4252
	s_cselect_b32 s20, s36, s60                                // 00000000AD58: 85143C24
	v_readlane_b32 s82, v3, 3                                  // 00000000AD5C: D2890052 00010703
	s_and_b32 s82, s82, 0xffffff                               // 00000000AD64: 8652FF52 00FFFFFF
	s_cmp_lt_u32 s82, s66                                      // 00000000AD6C: BF0A4252
	s_cselect_b32 s21, s36, s60                                // 00000000AD70: 85153C24
	s_mov_b64 exec, s[20:21]                                   // 00000000AD74: BEFE0114
	global_atomic_add_f32 v6, v161, s[8:9]                     // 00000000AD78: DD348000 0008A106
	global_atomic_add_f32 v6, v165, s[8:9] offset:256          // 00000000AD80: DD348100 0008A506
	s_mov_b64 exec, s[36:37]                                   // 00000000AD88: BEFE0124
	v_mov_b32_e32 v6, v68                                      // 00000000AD8C: 7E0C0344
	s_mov_b64 s[60:61], 0                                      // 00000000AD90: BEBC0180
	v_readlane_b32 s82, v3, 4                                  // 00000000AD94: D2890052 00010903
	s_and_b32 s82, s82, 0xffffff                               // 00000000AD9C: 8652FF52 00FFFFFF
	s_cmp_lt_u32 s82, s66                                      // 00000000ADA4: BF0A4252
	s_cselect_b32 s20, s36, s60                                // 00000000ADA8: 85143C24
	v_readlane_b32 s82, v3, 5                                  // 00000000ADAC: D2890052 00010B03
	s_and_b32 s82, s82, 0xffffff                               // 00000000ADB4: 8652FF52 00FFFFFF
	s_cmp_lt_u32 s82, s66                                      // 00000000ADBC: BF0A4252
	s_cselect_b32 s21, s36, s60                                // 00000000ADC0: 85153C24
	s_mov_b64 exec, s[20:21]                                   // 00000000ADC4: BEFE0114
	global_atomic_add_f32 v6, v168, s[8:9]                     // 00000000ADC8: DD348000 0008A806
	global_atomic_add_f32 v6, v172, s[8:9] offset:256          // 00000000ADD0: DD348100 0008AC06
	s_mov_b64 exec, s[36:37]                                   // 00000000ADD8: BEFE0124
	v_mov_b32_e32 v6, v69                                      // 00000000ADDC: 7E0C0345
	s_mov_b64 s[60:61], 0                                      // 00000000ADE0: BEBC0180
	v_readlane_b32 s82, v3, 6                                  // 00000000ADE4: D2890052 00010D03
	s_and_b32 s82, s82, 0xffffff                               // 00000000ADEC: 8652FF52 00FFFFFF
	s_cmp_lt_u32 s82, s66                                      // 00000000ADF4: BF0A4252
	s_cselect_b32 s20, s36, s60                                // 00000000ADF8: 85143C24
	v_readlane_b32 s82, v3, 7                                  // 00000000ADFC: D2890052 00010F03
	s_and_b32 s82, s82, 0xffffff                               // 00000000AE04: 8652FF52 00FFFFFF
	s_cmp_lt_u32 s82, s66                                      // 00000000AE0C: BF0A4252
	s_cselect_b32 s21, s36, s60                                // 00000000AE10: 85153C24
	s_mov_b64 exec, s[20:21]                                   // 00000000AE14: BEFE0114
	global_atomic_add_f32 v6, v169, s[8:9]                     // 00000000AE18: DD348000 0008A906
	global_atomic_add_f32 v6, v173, s[8:9] offset:256          // 00000000AE20: DD348100 0008AD06
	s_mov_b64 exec, s[36:37]                                   // 00000000AE28: BEFE0124
	v_mov_b32_e32 v6, v70                                      // 00000000AE2C: 7E0C0346
	s_mov_b64 s[60:61], 0                                      // 00000000AE30: BEBC0180
	v_readlane_b32 s82, v3, 8                                  // 00000000AE34: D2890052 00011103
	s_and_b32 s82, s82, 0xffffff                               // 00000000AE3C: 8652FF52 00FFFFFF
	s_cmp_lt_u32 s82, s66                                      // 00000000AE44: BF0A4252
	s_cselect_b32 s20, s36, s60                                // 00000000AE48: 85143C24
	v_readlane_b32 s82, v3, 9                                  // 00000000AE4C: D2890052 00011303
	s_and_b32 s82, s82, 0xffffff                               // 00000000AE54: 8652FF52 00FFFFFF
	s_cmp_lt_u32 s82, s66                                      // 00000000AE5C: BF0A4252
	s_cselect_b32 s21, s36, s60                                // 00000000AE60: 85153C24
	s_mov_b64 exec, s[20:21]                                   // 00000000AE64: BEFE0114
	global_atomic_add_f32 v6, v176, s[8:9]                     // 00000000AE68: DD348000 0008B006
	global_atomic_add_f32 v6, v180, s[8:9] offset:256          // 00000000AE70: DD348100 0008B406
	s_mov_b64 exec, s[36:37]                                   // 00000000AE78: BEFE0124
	v_mov_b32_e32 v6, v71                                      // 00000000AE7C: 7E0C0347
	s_mov_b64 s[60:61], 0                                      // 00000000AE80: BEBC0180
	v_readlane_b32 s82, v3, 10                                 // 00000000AE84: D2890052 00011503
	s_and_b32 s82, s82, 0xffffff                               // 00000000AE8C: 8652FF52 00FFFFFF
	s_cmp_lt_u32 s82, s66                                      // 00000000AE94: BF0A4252
	s_cselect_b32 s20, s36, s60                                // 00000000AE98: 85143C24
	v_readlane_b32 s82, v3, 11                                 // 00000000AE9C: D2890052 00011703
	s_and_b32 s82, s82, 0xffffff                               // 00000000AEA4: 8652FF52 00FFFFFF
	s_cmp_lt_u32 s82, s66                                      // 00000000AEAC: BF0A4252
	s_cselect_b32 s21, s36, s60                                // 00000000AEB0: 85153C24
	s_mov_b64 exec, s[20:21]                                   // 00000000AEB4: BEFE0114
	global_atomic_add_f32 v6, v177, s[8:9]                     // 00000000AEB8: DD348000 0008B106
	global_atomic_add_f32 v6, v181, s[8:9] offset:256          // 00000000AEC0: DD348100 0008B506
	s_mov_b64 exec, s[36:37]                                   // 00000000AEC8: BEFE0124
	v_mov_b32_e32 v6, v72                                      // 00000000AECC: 7E0C0348
	s_mov_b64 s[60:61], 0                                      // 00000000AED0: BEBC0180
	v_readlane_b32 s82, v3, 12                                 // 00000000AED4: D2890052 00011903
	s_and_b32 s82, s82, 0xffffff                               // 00000000AEDC: 8652FF52 00FFFFFF
	s_cmp_lt_u32 s82, s66                                      // 00000000AEE4: BF0A4252
	s_cselect_b32 s20, s36, s60                                // 00000000AEE8: 85143C24
	v_readlane_b32 s82, v3, 13                                 // 00000000AEEC: D2890052 00011B03
	s_and_b32 s82, s82, 0xffffff                               // 00000000AEF4: 8652FF52 00FFFFFF
	s_cmp_lt_u32 s82, s66                                      // 00000000AEFC: BF0A4252
	s_cselect_b32 s21, s36, s60                                // 00000000AF00: 85153C24
	s_mov_b64 exec, s[20:21]                                   // 00000000AF04: BEFE0114
	global_atomic_add_f32 v6, v184, s[8:9]                     // 00000000AF08: DD348000 0008B806
	global_atomic_add_f32 v6, v188, s[8:9] offset:256          // 00000000AF10: DD348100 0008BC06
	s_mov_b64 exec, s[36:37]                                   // 00000000AF18: BEFE0124
	v_mov_b32_e32 v6, v73                                      // 00000000AF1C: 7E0C0349
	s_mov_b64 s[60:61], 0                                      // 00000000AF20: BEBC0180
	v_readlane_b32 s82, v3, 14                                 // 00000000AF24: D2890052 00011D03
	s_and_b32 s82, s82, 0xffffff                               // 00000000AF2C: 8652FF52 00FFFFFF
	s_cmp_lt_u32 s82, s66                                      // 00000000AF34: BF0A4252
	s_cselect_b32 s20, s36, s60                                // 00000000AF38: 85143C24
	v_readlane_b32 s82, v3, 15                                 // 00000000AF3C: D2890052 00011F03
	s_and_b32 s82, s82, 0xffffff                               // 00000000AF44: 8652FF52 00FFFFFF
	s_cmp_lt_u32 s82, s66                                      // 00000000AF4C: BF0A4252
	s_cselect_b32 s21, s36, s60                                // 00000000AF50: 85153C24
	s_mov_b64 exec, s[20:21]                                   // 00000000AF54: BEFE0114
	global_atomic_add_f32 v6, v185, s[8:9]                     // 00000000AF58: DD348000 0008B906
	global_atomic_add_f32 v6, v189, s[8:9] offset:256          // 00000000AF60: DD348100 0008BD06
	s_mov_b64 exec, s[36:37]                                   // 00000000AF68: BEFE0124
	v_mov_b32_e32 v6, v74                                      // 00000000AF6C: 7E0C034A
	s_mov_b64 s[60:61], 0                                      // 00000000AF70: BEBC0180
	v_readlane_b32 s82, v3, 16                                 // 00000000AF74: D2890052 00012103
	s_and_b32 s82, s82, 0xffffff                               // 00000000AF7C: 8652FF52 00FFFFFF
	s_cmp_lt_u32 s82, s66                                      // 00000000AF84: BF0A4252
	s_cselect_b32 s20, s36, s60                                // 00000000AF88: 85143C24
	v_readlane_b32 s82, v3, 17                                 // 00000000AF8C: D2890052 00012303
	s_and_b32 s82, s82, 0xffffff                               // 00000000AF94: 8652FF52 00FFFFFF
	s_cmp_lt_u32 s82, s66                                      // 00000000AF9C: BF0A4252
	s_cselect_b32 s21, s36, s60                                // 00000000AFA0: 85153C24
	s_mov_b64 exec, s[20:21]                                   // 00000000AFA4: BEFE0114
	global_atomic_add_f32 v6, v192, s[8:9]                     // 00000000AFA8: DD348000 0008C006
	global_atomic_add_f32 v6, v196, s[8:9] offset:256          // 00000000AFB0: DD348100 0008C406
	s_mov_b64 exec, s[36:37]                                   // 00000000AFB8: BEFE0124
	v_mov_b32_e32 v6, v75                                      // 00000000AFBC: 7E0C034B
	s_mov_b64 s[60:61], 0                                      // 00000000AFC0: BEBC0180
	v_readlane_b32 s82, v3, 18                                 // 00000000AFC4: D2890052 00012503
	s_and_b32 s82, s82, 0xffffff                               // 00000000AFCC: 8652FF52 00FFFFFF
	s_cmp_lt_u32 s82, s66                                      // 00000000AFD4: BF0A4252
	s_cselect_b32 s20, s36, s60                                // 00000000AFD8: 85143C24
	v_readlane_b32 s82, v3, 19                                 // 00000000AFDC: D2890052 00012703
	s_and_b32 s82, s82, 0xffffff                               // 00000000AFE4: 8652FF52 00FFFFFF
	s_cmp_lt_u32 s82, s66                                      // 00000000AFEC: BF0A4252
	s_cselect_b32 s21, s36, s60                                // 00000000AFF0: 85153C24
	s_mov_b64 exec, s[20:21]                                   // 00000000AFF4: BEFE0114
	global_atomic_add_f32 v6, v193, s[8:9]                     // 00000000AFF8: DD348000 0008C106
	global_atomic_add_f32 v6, v197, s[8:9] offset:256          // 00000000B000: DD348100 0008C506
	s_mov_b64 exec, s[36:37]                                   // 00000000B008: BEFE0124
	v_mov_b32_e32 v6, v76                                      // 00000000B00C: 7E0C034C
	s_mov_b64 s[60:61], 0                                      // 00000000B010: BEBC0180
	v_readlane_b32 s82, v3, 20                                 // 00000000B014: D2890052 00012903
	s_and_b32 s82, s82, 0xffffff                               // 00000000B01C: 8652FF52 00FFFFFF
	s_cmp_lt_u32 s82, s66                                      // 00000000B024: BF0A4252
	s_cselect_b32 s20, s36, s60                                // 00000000B028: 85143C24
	v_readlane_b32 s82, v3, 21                                 // 00000000B02C: D2890052 00012B03
	s_and_b32 s82, s82, 0xffffff                               // 00000000B034: 8652FF52 00FFFFFF
	s_cmp_lt_u32 s82, s66                                      // 00000000B03C: BF0A4252
	s_cselect_b32 s21, s36, s60                                // 00000000B040: 85153C24
	s_mov_b64 exec, s[20:21]                                   // 00000000B044: BEFE0114
	global_atomic_add_f32 v6, v200, s[8:9]                     // 00000000B048: DD348000 0008C806
	global_atomic_add_f32 v6, v204, s[8:9] offset:256          // 00000000B050: DD348100 0008CC06
	s_mov_b64 exec, s[36:37]                                   // 00000000B058: BEFE0124
	v_mov_b32_e32 v6, v77                                      // 00000000B05C: 7E0C034D
	s_mov_b64 s[60:61], 0                                      // 00000000B060: BEBC0180
	v_readlane_b32 s82, v3, 22                                 // 00000000B064: D2890052 00012D03
	s_and_b32 s82, s82, 0xffffff                               // 00000000B06C: 8652FF52 00FFFFFF
	s_cmp_lt_u32 s82, s66                                      // 00000000B074: BF0A4252
	s_cselect_b32 s20, s36, s60                                // 00000000B078: 85143C24
	v_readlane_b32 s82, v3, 23                                 // 00000000B07C: D2890052 00012F03
	s_and_b32 s82, s82, 0xffffff                               // 00000000B084: 8652FF52 00FFFFFF
	s_cmp_lt_u32 s82, s66                                      // 00000000B08C: BF0A4252
	s_cselect_b32 s21, s36, s60                                // 00000000B090: 85153C24
	s_mov_b64 exec, s[20:21]                                   // 00000000B094: BEFE0114
	global_atomic_add_f32 v6, v201, s[8:9]                     // 00000000B098: DD348000 0008C906
	global_atomic_add_f32 v6, v205, s[8:9] offset:256          // 00000000B0A0: DD348100 0008CD06
	s_mov_b64 exec, s[36:37]                                   // 00000000B0A8: BEFE0124
	v_mov_b32_e32 v6, v78                                      // 00000000B0AC: 7E0C034E
	s_mov_b64 s[60:61], 0                                      // 00000000B0B0: BEBC0180
	v_readlane_b32 s82, v3, 24                                 // 00000000B0B4: D2890052 00013103
	s_and_b32 s82, s82, 0xffffff                               // 00000000B0BC: 8652FF52 00FFFFFF
	s_cmp_lt_u32 s82, s66                                      // 00000000B0C4: BF0A4252
	s_cselect_b32 s20, s36, s60                                // 00000000B0C8: 85143C24
	v_readlane_b32 s82, v3, 25                                 // 00000000B0CC: D2890052 00013303
	s_and_b32 s82, s82, 0xffffff                               // 00000000B0D4: 8652FF52 00FFFFFF
	s_cmp_lt_u32 s82, s66                                      // 00000000B0DC: BF0A4252
	s_cselect_b32 s21, s36, s60                                // 00000000B0E0: 85153C24
	s_mov_b64 exec, s[20:21]                                   // 00000000B0E4: BEFE0114
	global_atomic_add_f32 v6, v208, s[8:9]                     // 00000000B0E8: DD348000 0008D006
	global_atomic_add_f32 v6, v212, s[8:9] offset:256          // 00000000B0F0: DD348100 0008D406
	s_mov_b64 exec, s[36:37]                                   // 00000000B0F8: BEFE0124
	v_mov_b32_e32 v6, v79                                      // 00000000B0FC: 7E0C034F
	s_mov_b64 s[60:61], 0                                      // 00000000B100: BEBC0180
	v_readlane_b32 s82, v3, 26                                 // 00000000B104: D2890052 00013503
	s_and_b32 s82, s82, 0xffffff                               // 00000000B10C: 8652FF52 00FFFFFF
	s_cmp_lt_u32 s82, s66                                      // 00000000B114: BF0A4252
	s_cselect_b32 s20, s36, s60                                // 00000000B118: 85143C24
	v_readlane_b32 s82, v3, 27                                 // 00000000B11C: D2890052 00013703
	s_and_b32 s82, s82, 0xffffff                               // 00000000B124: 8652FF52 00FFFFFF
	s_cmp_lt_u32 s82, s66                                      // 00000000B12C: BF0A4252
	s_cselect_b32 s21, s36, s60                                // 00000000B130: 85153C24
	s_mov_b64 exec, s[20:21]                                   // 00000000B134: BEFE0114
	global_atomic_add_f32 v6, v209, s[8:9]                     // 00000000B138: DD348000 0008D106
	global_atomic_add_f32 v6, v213, s[8:9] offset:256          // 00000000B140: DD348100 0008D506
	s_mov_b64 exec, s[36:37]                                   // 00000000B148: BEFE0124
	v_mov_b32_e32 v6, v80                                      // 00000000B14C: 7E0C0350
	s_mov_b64 s[60:61], 0                                      // 00000000B150: BEBC0180
	v_readlane_b32 s82, v3, 28                                 // 00000000B154: D2890052 00013903
	s_and_b32 s82, s82, 0xffffff                               // 00000000B15C: 8652FF52 00FFFFFF
	s_cmp_lt_u32 s82, s66                                      // 00000000B164: BF0A4252
	s_cselect_b32 s20, s36, s60                                // 00000000B168: 85143C24
	v_readlane_b32 s82, v3, 29                                 // 00000000B16C: D2890052 00013B03
	s_and_b32 s82, s82, 0xffffff                               // 00000000B174: 8652FF52 00FFFFFF
	s_cmp_lt_u32 s82, s66                                      // 00000000B17C: BF0A4252
	s_cselect_b32 s21, s36, s60                                // 00000000B180: 85153C24
	s_mov_b64 exec, s[20:21]                                   // 00000000B184: BEFE0114
	global_atomic_add_f32 v6, v216, s[8:9]                     // 00000000B188: DD348000 0008D806
	global_atomic_add_f32 v6, v220, s[8:9] offset:256          // 00000000B190: DD348100 0008DC06
	s_mov_b64 exec, s[36:37]                                   // 00000000B198: BEFE0124
	v_mov_b32_e32 v6, v81                                      // 00000000B19C: 7E0C0351
	s_mov_b64 s[60:61], 0                                      // 00000000B1A0: BEBC0180
	v_readlane_b32 s82, v3, 30                                 // 00000000B1A4: D2890052 00013D03
	s_and_b32 s82, s82, 0xffffff                               // 00000000B1AC: 8652FF52 00FFFFFF
	s_cmp_lt_u32 s82, s66                                      // 00000000B1B4: BF0A4252
	s_cselect_b32 s20, s36, s60                                // 00000000B1B8: 85143C24
	v_readlane_b32 s82, v3, 31                                 // 00000000B1BC: D2890052 00013F03
	s_and_b32 s82, s82, 0xffffff                               // 00000000B1C4: 8652FF52 00FFFFFF
	s_cmp_lt_u32 s82, s66                                      // 00000000B1CC: BF0A4252
	s_cselect_b32 s21, s36, s60                                // 00000000B1D0: 85153C24
	s_mov_b64 exec, s[20:21]                                   // 00000000B1D4: BEFE0114
	global_atomic_add_f32 v6, v217, s[8:9]                     // 00000000B1D8: DD348000 0008D906
	global_atomic_add_f32 v6, v221, s[8:9] offset:256          // 00000000B1E0: DD348100 0008DD06
	s_mov_b64 exec, s[36:37]                                   // 00000000B1E8: BEFE0124
	v_mov_b32_e32 v6, v82                                      // 00000000B1EC: 7E0C0352
	s_mov_b64 s[60:61], 0                                      // 00000000B1F0: BEBC0180
	v_readlane_b32 s82, v3, 32                                 // 00000000B1F4: D2890052 00014103
	s_and_b32 s82, s82, 0xffffff                               // 00000000B1FC: 8652FF52 00FFFFFF
	s_cmp_lt_u32 s82, s66                                      // 00000000B204: BF0A4252
	s_cselect_b32 s20, s36, s60                                // 00000000B208: 85143C24
	v_readlane_b32 s82, v3, 33                                 // 00000000B20C: D2890052 00014303
	s_and_b32 s82, s82, 0xffffff                               // 00000000B214: 8652FF52 00FFFFFF
	s_cmp_lt_u32 s82, s66                                      // 00000000B21C: BF0A4252
	s_cselect_b32 s21, s36, s60                                // 00000000B220: 85153C24
	s_mov_b64 exec, s[20:21]                                   // 00000000B224: BEFE0114
	global_atomic_add_f32 v6, v224, s[8:9]                     // 00000000B228: DD348000 0008E006
	global_atomic_add_f32 v6, v228, s[8:9] offset:256          // 00000000B230: DD348100 0008E406
	s_mov_b64 exec, s[36:37]                                   // 00000000B238: BEFE0124
	v_mov_b32_e32 v6, v83                                      // 00000000B23C: 7E0C0353
	s_mov_b64 s[60:61], 0                                      // 00000000B240: BEBC0180
	v_readlane_b32 s82, v3, 34                                 // 00000000B244: D2890052 00014503
	s_and_b32 s82, s82, 0xffffff                               // 00000000B24C: 8652FF52 00FFFFFF
	s_cmp_lt_u32 s82, s66                                      // 00000000B254: BF0A4252
	s_cselect_b32 s20, s36, s60                                // 00000000B258: 85143C24
	v_readlane_b32 s82, v3, 35                                 // 00000000B25C: D2890052 00014703
	s_and_b32 s82, s82, 0xffffff                               // 00000000B264: 8652FF52 00FFFFFF
	s_cmp_lt_u32 s82, s66                                      // 00000000B26C: BF0A4252
	s_cselect_b32 s21, s36, s60                                // 00000000B270: 85153C24
	s_mov_b64 exec, s[20:21]                                   // 00000000B274: BEFE0114
	global_atomic_add_f32 v6, v225, s[8:9]                     // 00000000B278: DD348000 0008E106
	global_atomic_add_f32 v6, v229, s[8:9] offset:256          // 00000000B280: DD348100 0008E506
	s_mov_b64 exec, s[36:37]                                   // 00000000B288: BEFE0124
	ds_write_b64 v20, v[162:163]                               // 00000000B28C: D89A0000 0000A214
	ds_write_b64 v20, v[166:167] offset:4352                   // 00000000B294: D89A1100 0000A614
	ds_write_b64 v20, v[170:171] offset:8704                   // 00000000B29C: D89A2200 0000AA14
	ds_write_b64 v20, v[174:175] offset:13056                  // 00000000B2A4: D89A3300 0000AE14
	ds_write_b64 v20, v[178:179] offset:17408                  // 00000000B2AC: D89A4400 0000B214
	ds_write_b64 v20, v[182:183] offset:21760                  // 00000000B2B4: D89A5500 0000B614
	ds_write_b64 v20, v[186:187] offset:26112                  // 00000000B2BC: D89A6600 0000BA14
	ds_write_b64 v20, v[190:191] offset:30464                  // 00000000B2C4: D89A7700 0000BE14
	ds_write_b64 v20, v[194:195] offset:34816                  // 00000000B2CC: D89A8800 0000C214
	ds_write_b64 v20, v[198:199] offset:2176                   // 00000000B2D4: D89A0880 0000C614
	ds_write_b64 v20, v[202:203] offset:6528                   // 00000000B2DC: D89A1980 0000CA14
	ds_write_b64 v20, v[206:207] offset:10880                  // 00000000B2E4: D89A2A80 0000CE14
	ds_write_b64 v20, v[210:211] offset:15232                  // 00000000B2EC: D89A3B80 0000D214
	ds_write_b64 v20, v[214:215] offset:19584                  // 00000000B2F4: D89A4C80 0000D614
	ds_write_b64 v20, v[218:219] offset:23936                  // 00000000B2FC: D89A5D80 0000DA14
	ds_write_b64 v20, v[222:223] offset:28288                  // 00000000B304: D89A6E80 0000DE14
	ds_write_b64 v20, v[226:227] offset:32640                  // 00000000B30C: D89A7F80 0000E214
	ds_write_b64 v20, v[230:231] offset:36992                  // 00000000B314: D89A9080 0000E614
	s_waitcnt lgkmcnt(0)                                       // 00000000B31C: BF8CC07F
	s_barrier                                                  // 00000000B320: BF8A0000
	ds_read_b32 v162, v21                                      // 00000000B324: D86C0000 A2000015
	ds_read_b32 v163, v21 offset:64                            // 00000000B32C: D86C0040 A3000015
	ds_read_b32 v166, v21 offset:2176                          // 00000000B334: D86C0880 A6000015
	ds_read_b32 v167, v21 offset:2240                          // 00000000B33C: D86C08C0 A7000015
	ds_read_b32 v170, v21 offset:4352                          // 00000000B344: D86C1100 AA000015
	ds_read_b32 v171, v21 offset:4416                          // 00000000B34C: D86C1140 AB000015
	ds_read_b32 v174, v21 offset:6528                          // 00000000B354: D86C1980 AE000015
	ds_read_b32 v175, v21 offset:6592                          // 00000000B35C: D86C19C0 AF000015
	ds_read_b32 v178, v21 offset:8704                          // 00000000B364: D86C2200 B2000015
	ds_read_b32 v179, v21 offset:8768                          // 00000000B36C: D86C2240 B3000015
	ds_read_b32 v182, v21 offset:10880                         // 00000000B374: D86C2A80 B6000015
	ds_read_b32 v183, v21 offset:10944                         // 00000000B37C: D86C2AC0 B7000015
	ds_read_b32 v186, v21 offset:13056                         // 00000000B384: D86C3300 BA000015
	ds_read_b32 v187, v21 offset:13120                         // 00000000B38C: D86C3340 BB000015
	ds_read_b32 v190, v21 offset:15232                         // 00000000B394: D86C3B80 BE000015
	ds_read_b32 v191, v21 offset:15296                         // 00000000B39C: D86C3BC0 BF000015
	ds_read_b32 v194, v21 offset:17408                         // 00000000B3A4: D86C4400 C2000015
	ds_read_b32 v195, v21 offset:17472                         // 00000000B3AC: D86C4440 C3000015
	ds_read_b32 v198, v21 offset:19584                         // 00000000B3B4: D86C4C80 C6000015
	ds_read_b32 v199, v21 offset:19648                         // 00000000B3BC: D86C4CC0 C7000015
	ds_read_b32 v202, v21 offset:21760                         // 00000000B3C4: D86C5500 CA000015
	ds_read_b32 v203, v21 offset:21824                         // 00000000B3CC: D86C5540 CB000015
	ds_read_b32 v206, v21 offset:23936                         // 00000000B3D4: D86C5D80 CE000015
	ds_read_b32 v207, v21 offset:24000                         // 00000000B3DC: D86C5DC0 CF000015
	ds_read_b32 v210, v21 offset:26112                         // 00000000B3E4: D86C6600 D2000015
	ds_read_b32 v211, v21 offset:26176                         // 00000000B3EC: D86C6640 D3000015
	ds_read_b32 v214, v21 offset:28288                         // 00000000B3F4: D86C6E80 D6000015
	ds_read_b32 v215, v21 offset:28352                         // 00000000B3FC: D86C6EC0 D7000015
	ds_read_b32 v218, v21 offset:30464                         // 00000000B404: D86C7700 DA000015
	ds_read_b32 v219, v21 offset:30528                         // 00000000B40C: D86C7740 DB000015
	ds_read_b32 v222, v21 offset:32640                         // 00000000B414: D86C7F80 DE000015
	ds_read_b32 v223, v21 offset:32704                         // 00000000B41C: D86C7FC0 DF000015
	ds_read_b32 v226, v21 offset:34816                         // 00000000B424: D86C8800 E2000015
	ds_read_b32 v227, v21 offset:34880                         // 00000000B42C: D86C8840 E3000015
	ds_read_b32 v230, v21 offset:36992                         // 00000000B434: D86C9080 E6000015
	ds_read_b32 v231, v21 offset:37056                         // 00000000B43C: D86C90C0 E7000015
	s_waitcnt lgkmcnt(0)                                       // 00000000B444: BF8CC07F
	v_mov_b32_e32 v7, 0                                        // 00000000B448: 7E0E0280
	s_mov_b64 exec, s[36:37]                                   // 00000000B44C: BEFE0124
	v_mov_b32_e32 v6, v66                                      // 00000000B450: 7E0C0342
	s_mov_b64 s[60:61], 0                                      // 00000000B454: BEBC0180
	v_readlane_b32 s82, v3, 0                                  // 00000000B458: D2890052 00010103
	s_and_b32 s82, s82, 0xffffff                               // 00000000B460: 8652FF52 00FFFFFF
	s_cmp_lt_u32 s82, s66                                      // 00000000B468: BF0A4252
	s_cselect_b32 s20, s36, s60                                // 00000000B46C: 85143C24
	v_readlane_b32 s82, v3, 1                                  // 00000000B470: D2890052 00010303
	s_and_b32 s82, s82, 0xffffff                               // 00000000B478: 8652FF52 00FFFFFF
	s_cmp_lt_u32 s82, s66                                      // 00000000B480: BF0A4252
	s_cselect_b32 s21, s36, s60                                // 00000000B484: 85153C24
	s_mov_b64 exec, s[20:21]                                   // 00000000B488: BEFE0114
	global_atomic_add_f32 v6, v162, s[8:9] offset:8            // 00000000B48C: DD348008 0008A206
	global_atomic_add_f32 v6, v166, s[8:9] offset:264          // 00000000B494: DD348108 0008A606
	s_mov_b64 exec, s[36:37]                                   // 00000000B49C: BEFE0124
	v_mov_b32_e32 v6, v67                                      // 00000000B4A0: 7E0C0343
	s_mov_b64 s[60:61], 0                                      // 00000000B4A4: BEBC0180
	v_readlane_b32 s82, v3, 2                                  // 00000000B4A8: D2890052 00010503
	s_and_b32 s82, s82, 0xffffff                               // 00000000B4B0: 8652FF52 00FFFFFF
	s_cmp_lt_u32 s82, s66                                      // 00000000B4B8: BF0A4252
	s_cselect_b32 s20, s36, s60                                // 00000000B4BC: 85143C24
	v_readlane_b32 s82, v3, 3                                  // 00000000B4C0: D2890052 00010703
	s_and_b32 s82, s82, 0xffffff                               // 00000000B4C8: 8652FF52 00FFFFFF
	s_cmp_lt_u32 s82, s66                                      // 00000000B4D0: BF0A4252
	s_cselect_b32 s21, s36, s60                                // 00000000B4D4: 85153C24
	s_mov_b64 exec, s[20:21]                                   // 00000000B4D8: BEFE0114
	global_atomic_add_f32 v6, v163, s[8:9] offset:8            // 00000000B4DC: DD348008 0008A306
	global_atomic_add_f32 v6, v167, s[8:9] offset:264          // 00000000B4E4: DD348108 0008A706
	s_mov_b64 exec, s[36:37]                                   // 00000000B4EC: BEFE0124
	v_mov_b32_e32 v6, v68                                      // 00000000B4F0: 7E0C0344
	s_mov_b64 s[60:61], 0                                      // 00000000B4F4: BEBC0180
	v_readlane_b32 s82, v3, 4                                  // 00000000B4F8: D2890052 00010903
	s_and_b32 s82, s82, 0xffffff                               // 00000000B500: 8652FF52 00FFFFFF
	s_cmp_lt_u32 s82, s66                                      // 00000000B508: BF0A4252
	s_cselect_b32 s20, s36, s60                                // 00000000B50C: 85143C24
	v_readlane_b32 s82, v3, 5                                  // 00000000B510: D2890052 00010B03
	s_and_b32 s82, s82, 0xffffff                               // 00000000B518: 8652FF52 00FFFFFF
	s_cmp_lt_u32 s82, s66                                      // 00000000B520: BF0A4252
	s_cselect_b32 s21, s36, s60                                // 00000000B524: 85153C24
	s_mov_b64 exec, s[20:21]                                   // 00000000B528: BEFE0114
	global_atomic_add_f32 v6, v170, s[8:9] offset:8            // 00000000B52C: DD348008 0008AA06
	global_atomic_add_f32 v6, v174, s[8:9] offset:264          // 00000000B534: DD348108 0008AE06
	s_mov_b64 exec, s[36:37]                                   // 00000000B53C: BEFE0124
	v_mov_b32_e32 v6, v69                                      // 00000000B540: 7E0C0345
	s_mov_b64 s[60:61], 0                                      // 00000000B544: BEBC0180
	v_readlane_b32 s82, v3, 6                                  // 00000000B548: D2890052 00010D03
	s_and_b32 s82, s82, 0xffffff                               // 00000000B550: 8652FF52 00FFFFFF
	s_cmp_lt_u32 s82, s66                                      // 00000000B558: BF0A4252
	s_cselect_b32 s20, s36, s60                                // 00000000B55C: 85143C24
	v_readlane_b32 s82, v3, 7                                  // 00000000B560: D2890052 00010F03
	s_and_b32 s82, s82, 0xffffff                               // 00000000B568: 8652FF52 00FFFFFF
	s_cmp_lt_u32 s82, s66                                      // 00000000B570: BF0A4252
	s_cselect_b32 s21, s36, s60                                // 00000000B574: 85153C24
	s_mov_b64 exec, s[20:21]                                   // 00000000B578: BEFE0114
	global_atomic_add_f32 v6, v171, s[8:9] offset:8            // 00000000B57C: DD348008 0008AB06
	global_atomic_add_f32 v6, v175, s[8:9] offset:264          // 00000000B584: DD348108 0008AF06
	s_mov_b64 exec, s[36:37]                                   // 00000000B58C: BEFE0124
	v_mov_b32_e32 v6, v70                                      // 00000000B590: 7E0C0346
	s_mov_b64 s[60:61], 0                                      // 00000000B594: BEBC0180
	v_readlane_b32 s82, v3, 8                                  // 00000000B598: D2890052 00011103
	s_and_b32 s82, s82, 0xffffff                               // 00000000B5A0: 8652FF52 00FFFFFF
	s_cmp_lt_u32 s82, s66                                      // 00000000B5A8: BF0A4252
	s_cselect_b32 s20, s36, s60                                // 00000000B5AC: 85143C24
	v_readlane_b32 s82, v3, 9                                  // 00000000B5B0: D2890052 00011303
	s_and_b32 s82, s82, 0xffffff                               // 00000000B5B8: 8652FF52 00FFFFFF
	s_cmp_lt_u32 s82, s66                                      // 00000000B5C0: BF0A4252
	s_cselect_b32 s21, s36, s60                                // 00000000B5C4: 85153C24
	s_mov_b64 exec, s[20:21]                                   // 00000000B5C8: BEFE0114
	global_atomic_add_f32 v6, v178, s[8:9] offset:8            // 00000000B5CC: DD348008 0008B206
	global_atomic_add_f32 v6, v182, s[8:9] offset:264          // 00000000B5D4: DD348108 0008B606
	s_mov_b64 exec, s[36:37]                                   // 00000000B5DC: BEFE0124
	v_mov_b32_e32 v6, v71                                      // 00000000B5E0: 7E0C0347
	s_mov_b64 s[60:61], 0                                      // 00000000B5E4: BEBC0180
	v_readlane_b32 s82, v3, 10                                 // 00000000B5E8: D2890052 00011503
	s_and_b32 s82, s82, 0xffffff                               // 00000000B5F0: 8652FF52 00FFFFFF
	s_cmp_lt_u32 s82, s66                                      // 00000000B5F8: BF0A4252
	s_cselect_b32 s20, s36, s60                                // 00000000B5FC: 85143C24
	v_readlane_b32 s82, v3, 11                                 // 00000000B600: D2890052 00011703
	s_and_b32 s82, s82, 0xffffff                               // 00000000B608: 8652FF52 00FFFFFF
	s_cmp_lt_u32 s82, s66                                      // 00000000B610: BF0A4252
	s_cselect_b32 s21, s36, s60                                // 00000000B614: 85153C24
	s_mov_b64 exec, s[20:21]                                   // 00000000B618: BEFE0114
	global_atomic_add_f32 v6, v179, s[8:9] offset:8            // 00000000B61C: DD348008 0008B306
	global_atomic_add_f32 v6, v183, s[8:9] offset:264          // 00000000B624: DD348108 0008B706
	s_mov_b64 exec, s[36:37]                                   // 00000000B62C: BEFE0124
	v_mov_b32_e32 v6, v72                                      // 00000000B630: 7E0C0348
	s_mov_b64 s[60:61], 0                                      // 00000000B634: BEBC0180
	v_readlane_b32 s82, v3, 12                                 // 00000000B638: D2890052 00011903
	s_and_b32 s82, s82, 0xffffff                               // 00000000B640: 8652FF52 00FFFFFF
	s_cmp_lt_u32 s82, s66                                      // 00000000B648: BF0A4252
	s_cselect_b32 s20, s36, s60                                // 00000000B64C: 85143C24
	v_readlane_b32 s82, v3, 13                                 // 00000000B650: D2890052 00011B03
	s_and_b32 s82, s82, 0xffffff                               // 00000000B658: 8652FF52 00FFFFFF
	s_cmp_lt_u32 s82, s66                                      // 00000000B660: BF0A4252
	s_cselect_b32 s21, s36, s60                                // 00000000B664: 85153C24
	s_mov_b64 exec, s[20:21]                                   // 00000000B668: BEFE0114
	global_atomic_add_f32 v6, v186, s[8:9] offset:8            // 00000000B66C: DD348008 0008BA06
	global_atomic_add_f32 v6, v190, s[8:9] offset:264          // 00000000B674: DD348108 0008BE06
	s_mov_b64 exec, s[36:37]                                   // 00000000B67C: BEFE0124
	v_mov_b32_e32 v6, v73                                      // 00000000B680: 7E0C0349
	s_mov_b64 s[60:61], 0                                      // 00000000B684: BEBC0180
	v_readlane_b32 s82, v3, 14                                 // 00000000B688: D2890052 00011D03
	s_and_b32 s82, s82, 0xffffff                               // 00000000B690: 8652FF52 00FFFFFF
	s_cmp_lt_u32 s82, s66                                      // 00000000B698: BF0A4252
	s_cselect_b32 s20, s36, s60                                // 00000000B69C: 85143C24
	v_readlane_b32 s82, v3, 15                                 // 00000000B6A0: D2890052 00011F03
	s_and_b32 s82, s82, 0xffffff                               // 00000000B6A8: 8652FF52 00FFFFFF
	s_cmp_lt_u32 s82, s66                                      // 00000000B6B0: BF0A4252
	s_cselect_b32 s21, s36, s60                                // 00000000B6B4: 85153C24
	s_mov_b64 exec, s[20:21]                                   // 00000000B6B8: BEFE0114
	global_atomic_add_f32 v6, v187, s[8:9] offset:8            // 00000000B6BC: DD348008 0008BB06
	global_atomic_add_f32 v6, v191, s[8:9] offset:264          // 00000000B6C4: DD348108 0008BF06
	s_mov_b64 exec, s[36:37]                                   // 00000000B6CC: BEFE0124
	v_mov_b32_e32 v6, v74                                      // 00000000B6D0: 7E0C034A
	s_mov_b64 s[60:61], 0                                      // 00000000B6D4: BEBC0180
	v_readlane_b32 s82, v3, 16                                 // 00000000B6D8: D2890052 00012103
	s_and_b32 s82, s82, 0xffffff                               // 00000000B6E0: 8652FF52 00FFFFFF
	s_cmp_lt_u32 s82, s66                                      // 00000000B6E8: BF0A4252
	s_cselect_b32 s20, s36, s60                                // 00000000B6EC: 85143C24
	v_readlane_b32 s82, v3, 17                                 // 00000000B6F0: D2890052 00012303
	s_and_b32 s82, s82, 0xffffff                               // 00000000B6F8: 8652FF52 00FFFFFF
	s_cmp_lt_u32 s82, s66                                      // 00000000B700: BF0A4252
	s_cselect_b32 s21, s36, s60                                // 00000000B704: 85153C24
	s_mov_b64 exec, s[20:21]                                   // 00000000B708: BEFE0114
	global_atomic_add_f32 v6, v194, s[8:9] offset:8            // 00000000B70C: DD348008 0008C206
	global_atomic_add_f32 v6, v198, s[8:9] offset:264          // 00000000B714: DD348108 0008C606
	s_mov_b64 exec, s[36:37]                                   // 00000000B71C: BEFE0124
	v_mov_b32_e32 v6, v75                                      // 00000000B720: 7E0C034B
	s_mov_b64 s[60:61], 0                                      // 00000000B724: BEBC0180
	v_readlane_b32 s82, v3, 18                                 // 00000000B728: D2890052 00012503
	s_and_b32 s82, s82, 0xffffff                               // 00000000B730: 8652FF52 00FFFFFF
	s_cmp_lt_u32 s82, s66                                      // 00000000B738: BF0A4252
	s_cselect_b32 s20, s36, s60                                // 00000000B73C: 85143C24
	v_readlane_b32 s82, v3, 19                                 // 00000000B740: D2890052 00012703
	s_and_b32 s82, s82, 0xffffff                               // 00000000B748: 8652FF52 00FFFFFF
	s_cmp_lt_u32 s82, s66                                      // 00000000B750: BF0A4252
	s_cselect_b32 s21, s36, s60                                // 00000000B754: 85153C24
	s_mov_b64 exec, s[20:21]                                   // 00000000B758: BEFE0114
	global_atomic_add_f32 v6, v195, s[8:9] offset:8            // 00000000B75C: DD348008 0008C306
	global_atomic_add_f32 v6, v199, s[8:9] offset:264          // 00000000B764: DD348108 0008C706
	s_mov_b64 exec, s[36:37]                                   // 00000000B76C: BEFE0124
	v_mov_b32_e32 v6, v76                                      // 00000000B770: 7E0C034C
	s_mov_b64 s[60:61], 0                                      // 00000000B774: BEBC0180
	v_readlane_b32 s82, v3, 20                                 // 00000000B778: D2890052 00012903
	s_and_b32 s82, s82, 0xffffff                               // 00000000B780: 8652FF52 00FFFFFF
	s_cmp_lt_u32 s82, s66                                      // 00000000B788: BF0A4252
	s_cselect_b32 s20, s36, s60                                // 00000000B78C: 85143C24
	v_readlane_b32 s82, v3, 21                                 // 00000000B790: D2890052 00012B03
	s_and_b32 s82, s82, 0xffffff                               // 00000000B798: 8652FF52 00FFFFFF
	s_cmp_lt_u32 s82, s66                                      // 00000000B7A0: BF0A4252
	s_cselect_b32 s21, s36, s60                                // 00000000B7A4: 85153C24
	s_mov_b64 exec, s[20:21]                                   // 00000000B7A8: BEFE0114
	global_atomic_add_f32 v6, v202, s[8:9] offset:8            // 00000000B7AC: DD348008 0008CA06
	global_atomic_add_f32 v6, v206, s[8:9] offset:264          // 00000000B7B4: DD348108 0008CE06
	s_mov_b64 exec, s[36:37]                                   // 00000000B7BC: BEFE0124
	v_mov_b32_e32 v6, v77                                      // 00000000B7C0: 7E0C034D
	s_mov_b64 s[60:61], 0                                      // 00000000B7C4: BEBC0180
	v_readlane_b32 s82, v3, 22                                 // 00000000B7C8: D2890052 00012D03
	s_and_b32 s82, s82, 0xffffff                               // 00000000B7D0: 8652FF52 00FFFFFF
	s_cmp_lt_u32 s82, s66                                      // 00000000B7D8: BF0A4252
	s_cselect_b32 s20, s36, s60                                // 00000000B7DC: 85143C24
	v_readlane_b32 s82, v3, 23                                 // 00000000B7E0: D2890052 00012F03
	s_and_b32 s82, s82, 0xffffff                               // 00000000B7E8: 8652FF52 00FFFFFF
	s_cmp_lt_u32 s82, s66                                      // 00000000B7F0: BF0A4252
	s_cselect_b32 s21, s36, s60                                // 00000000B7F4: 85153C24
	s_mov_b64 exec, s[20:21]                                   // 00000000B7F8: BEFE0114
	global_atomic_add_f32 v6, v203, s[8:9] offset:8            // 00000000B7FC: DD348008 0008CB06
	global_atomic_add_f32 v6, v207, s[8:9] offset:264          // 00000000B804: DD348108 0008CF06
	s_mov_b64 exec, s[36:37]                                   // 00000000B80C: BEFE0124
	v_mov_b32_e32 v6, v78                                      // 00000000B810: 7E0C034E
	s_mov_b64 s[60:61], 0                                      // 00000000B814: BEBC0180
	v_readlane_b32 s82, v3, 24                                 // 00000000B818: D2890052 00013103
	s_and_b32 s82, s82, 0xffffff                               // 00000000B820: 8652FF52 00FFFFFF
	s_cmp_lt_u32 s82, s66                                      // 00000000B828: BF0A4252
	s_cselect_b32 s20, s36, s60                                // 00000000B82C: 85143C24
	v_readlane_b32 s82, v3, 25                                 // 00000000B830: D2890052 00013303
	s_and_b32 s82, s82, 0xffffff                               // 00000000B838: 8652FF52 00FFFFFF
	s_cmp_lt_u32 s82, s66                                      // 00000000B840: BF0A4252
	s_cselect_b32 s21, s36, s60                                // 00000000B844: 85153C24
	s_mov_b64 exec, s[20:21]                                   // 00000000B848: BEFE0114
	global_atomic_add_f32 v6, v210, s[8:9] offset:8            // 00000000B84C: DD348008 0008D206
	global_atomic_add_f32 v6, v214, s[8:9] offset:264          // 00000000B854: DD348108 0008D606
	s_mov_b64 exec, s[36:37]                                   // 00000000B85C: BEFE0124
	v_mov_b32_e32 v6, v79                                      // 00000000B860: 7E0C034F
	s_mov_b64 s[60:61], 0                                      // 00000000B864: BEBC0180
	v_readlane_b32 s82, v3, 26                                 // 00000000B868: D2890052 00013503
	s_and_b32 s82, s82, 0xffffff                               // 00000000B870: 8652FF52 00FFFFFF
	s_cmp_lt_u32 s82, s66                                      // 00000000B878: BF0A4252
	s_cselect_b32 s20, s36, s60                                // 00000000B87C: 85143C24
	v_readlane_b32 s82, v3, 27                                 // 00000000B880: D2890052 00013703
	s_and_b32 s82, s82, 0xffffff                               // 00000000B888: 8652FF52 00FFFFFF
	s_cmp_lt_u32 s82, s66                                      // 00000000B890: BF0A4252
	s_cselect_b32 s21, s36, s60                                // 00000000B894: 85153C24
	s_mov_b64 exec, s[20:21]                                   // 00000000B898: BEFE0114
	global_atomic_add_f32 v6, v211, s[8:9] offset:8            // 00000000B89C: DD348008 0008D306
	global_atomic_add_f32 v6, v215, s[8:9] offset:264          // 00000000B8A4: DD348108 0008D706
	s_mov_b64 exec, s[36:37]                                   // 00000000B8AC: BEFE0124
	v_mov_b32_e32 v6, v80                                      // 00000000B8B0: 7E0C0350
	s_mov_b64 s[60:61], 0                                      // 00000000B8B4: BEBC0180
	v_readlane_b32 s82, v3, 28                                 // 00000000B8B8: D2890052 00013903
	s_and_b32 s82, s82, 0xffffff                               // 00000000B8C0: 8652FF52 00FFFFFF
	s_cmp_lt_u32 s82, s66                                      // 00000000B8C8: BF0A4252
	s_cselect_b32 s20, s36, s60                                // 00000000B8CC: 85143C24
	v_readlane_b32 s82, v3, 29                                 // 00000000B8D0: D2890052 00013B03
	s_and_b32 s82, s82, 0xffffff                               // 00000000B8D8: 8652FF52 00FFFFFF
	s_cmp_lt_u32 s82, s66                                      // 00000000B8E0: BF0A4252
	s_cselect_b32 s21, s36, s60                                // 00000000B8E4: 85153C24
	s_mov_b64 exec, s[20:21]                                   // 00000000B8E8: BEFE0114
	global_atomic_add_f32 v6, v218, s[8:9] offset:8            // 00000000B8EC: DD348008 0008DA06
	global_atomic_add_f32 v6, v222, s[8:9] offset:264          // 00000000B8F4: DD348108 0008DE06
	s_mov_b64 exec, s[36:37]                                   // 00000000B8FC: BEFE0124
	v_mov_b32_e32 v6, v81                                      // 00000000B900: 7E0C0351
	s_mov_b64 s[60:61], 0                                      // 00000000B904: BEBC0180
	v_readlane_b32 s82, v3, 30                                 // 00000000B908: D2890052 00013D03
	s_and_b32 s82, s82, 0xffffff                               // 00000000B910: 8652FF52 00FFFFFF
	s_cmp_lt_u32 s82, s66                                      // 00000000B918: BF0A4252
	s_cselect_b32 s20, s36, s60                                // 00000000B91C: 85143C24
	v_readlane_b32 s82, v3, 31                                 // 00000000B920: D2890052 00013F03
	s_and_b32 s82, s82, 0xffffff                               // 00000000B928: 8652FF52 00FFFFFF
	s_cmp_lt_u32 s82, s66                                      // 00000000B930: BF0A4252
	s_cselect_b32 s21, s36, s60                                // 00000000B934: 85153C24
	s_mov_b64 exec, s[20:21]                                   // 00000000B938: BEFE0114
	global_atomic_add_f32 v6, v219, s[8:9] offset:8            // 00000000B93C: DD348008 0008DB06
	global_atomic_add_f32 v6, v223, s[8:9] offset:264          // 00000000B944: DD348108 0008DF06
	s_mov_b64 exec, s[36:37]                                   // 00000000B94C: BEFE0124
	v_mov_b32_e32 v6, v82                                      // 00000000B950: 7E0C0352
	s_mov_b64 s[60:61], 0                                      // 00000000B954: BEBC0180
	v_readlane_b32 s82, v3, 32                                 // 00000000B958: D2890052 00014103
	s_and_b32 s82, s82, 0xffffff                               // 00000000B960: 8652FF52 00FFFFFF
	s_cmp_lt_u32 s82, s66                                      // 00000000B968: BF0A4252
	s_cselect_b32 s20, s36, s60                                // 00000000B96C: 85143C24
	v_readlane_b32 s82, v3, 33                                 // 00000000B970: D2890052 00014303
	s_and_b32 s82, s82, 0xffffff                               // 00000000B978: 8652FF52 00FFFFFF
	s_cmp_lt_u32 s82, s66                                      // 00000000B980: BF0A4252
	s_cselect_b32 s21, s36, s60                                // 00000000B984: 85153C24
	s_mov_b64 exec, s[20:21]                                   // 00000000B988: BEFE0114
	global_atomic_add_f32 v6, v226, s[8:9] offset:8            // 00000000B98C: DD348008 0008E206
	global_atomic_add_f32 v6, v230, s[8:9] offset:264          // 00000000B994: DD348108 0008E606
	s_mov_b64 exec, s[36:37]                                   // 00000000B99C: BEFE0124
	v_mov_b32_e32 v6, v83                                      // 00000000B9A0: 7E0C0353
	s_mov_b64 s[60:61], 0                                      // 00000000B9A4: BEBC0180
	v_readlane_b32 s82, v3, 34                                 // 00000000B9A8: D2890052 00014503
	s_and_b32 s82, s82, 0xffffff                               // 00000000B9B0: 8652FF52 00FFFFFF
	s_cmp_lt_u32 s82, s66                                      // 00000000B9B8: BF0A4252
	s_cselect_b32 s20, s36, s60                                // 00000000B9BC: 85143C24
	v_readlane_b32 s82, v3, 35                                 // 00000000B9C0: D2890052 00014703
	s_and_b32 s82, s82, 0xffffff                               // 00000000B9C8: 8652FF52 00FFFFFF
	s_cmp_lt_u32 s82, s66                                      // 00000000B9D0: BF0A4252
	s_cselect_b32 s21, s36, s60                                // 00000000B9D4: 85153C24
	s_mov_b64 exec, s[20:21]                                   // 00000000B9D8: BEFE0114
	global_atomic_add_f32 v6, v227, s[8:9] offset:8            // 00000000B9DC: DD348008 0008E306
	global_atomic_add_f32 v6, v231, s[8:9] offset:264          // 00000000B9E4: DD348108 0008E706
	s_mov_b64 exec, s[36:37]                                   // 00000000B9EC: BEFE0124
	s_branch label_4416                                        // 00000000B9F0: BF822016

000000000000b9f4 <label_2400>:
	s_waitcnt vmcnt(22) lgkmcnt(0)                             // 00000000B9F4: BF8C4076
	v_mfma_i32_16x16x32_i8 v[88:91], a[144:145], a[0:1], v[88:91]// 00000000B9F8: D3D70058 1D620190
	buffer_load_dwordx4 a[176:179], v84, s[24:27], 0 offen     // 00000000BA00: E05C1000 8086B054
	v_mfma_i32_16x16x32_i8 v[88:91], a[146:147], a[2:3], v[88:91]// 00000000BA08: D3D70058 1D620592
	v_mfma_i32_16x16x32_i8 v[88:91], a[148:149], a[4:5], v[88:91]// 00000000BA10: D3D70058 1D620994
	v_mfma_i32_16x16x32_i8 v[88:91], a[150:151], a[6:7], v[88:91]// 00000000BA18: D3D70058 1D620D96
	v_mfma_i32_16x16x32_i8 v[124:127], a[152:153], a[0:1], v[124:127]// 00000000BA20: D3D7007C 1DF20198
	buffer_load_dwordx4 a[180:183], v84, s[24:27], 0 offen offset:1024// 00000000BA28: E05C1400 8086B454
	v_mfma_i32_16x16x32_i8 v[124:127], a[154:155], a[2:3], v[124:127]// 00000000BA30: D3D7007C 1DF2059A
	v_mfma_i32_16x16x32_i8 v[124:127], a[156:157], a[4:5], v[124:127]// 00000000BA38: D3D7007C 1DF2099C
	v_mfma_i32_16x16x32_i8 v[124:127], a[158:159], a[6:7], v[124:127]// 00000000BA40: D3D7007C 1DF20D9E
	v_mfma_i32_16x16x32_i8 v[92:95], a[144:145], a[8:9], v[92:95]// 00000000BA48: D3D7005C 1D721190
	buffer_load_dwordx4 a[184:187], v85, s[24:27], 0 offen     // 00000000BA50: E05C1000 8086B855
	v_mfma_i32_16x16x32_i8 v[92:95], a[146:147], a[10:11], v[92:95]// 00000000BA58: D3D7005C 1D721592
	v_mfma_i32_16x16x32_i8 v[92:95], a[148:149], a[12:13], v[92:95]// 00000000BA60: D3D7005C 1D721994
	v_mfma_i32_16x16x32_i8 v[92:95], a[150:151], a[14:15], v[92:95]// 00000000BA68: D3D7005C 1D721D96
	v_mfma_i32_16x16x32_i8 v[128:131], a[152:153], a[8:9], v[128:131]// 00000000BA70: D3D70080 1E021198
	buffer_load_dwordx4 a[188:191], v85, s[24:27], 0 offen offset:1024// 00000000BA78: E05C1400 8086BC55
	buffer_load_dword v66, s[20:23], 0 offen lds               // 00000000BA80: E0511000 80050042
	s_add_u32 m0, 0x100, s50                                   // 00000000BA88: 807C32FF 00000100
	v_mfma_i32_16x16x32_i8 v[128:131], a[154:155], a[10:11], v[128:131]// 00000000BA90: D3D70080 1E02159A
	v_mfma_i32_16x16x32_i8 v[128:131], a[156:157], a[12:13], v[128:131]// 00000000BA98: D3D70080 1E02199C
	buffer_load_dword v67, s[20:23], 0 offen lds               // 00000000BAA0: E0511000 80050043
	s_add_u32 m0, 0x200, s50                                   // 00000000BAA8: 807C32FF 00000200
	v_mfma_i32_16x16x32_i8 v[128:131], a[158:159], a[14:15], v[128:131]// 00000000BAB0: D3D70080 1E021D9E
	v_mfma_i32_16x16x32_i8 v[96:99], a[144:145], a[16:17], v[96:99]// 00000000BAB8: D3D70060 1D822190
	buffer_load_dword v68, s[20:23], 0 offen lds               // 00000000BAC0: E0511000 80050044
	s_add_u32 m0, 0x300, s50                                   // 00000000BAC8: 807C32FF 00000300
	v_mfma_i32_16x16x32_i8 v[96:99], a[146:147], a[18:19], v[96:99]// 00000000BAD0: D3D70060 1D822592
	v_mfma_i32_16x16x32_i8 v[96:99], a[148:149], a[20:21], v[96:99]// 00000000BAD8: D3D70060 1D822994
	buffer_load_dword v69, s[20:23], 0 offen lds               // 00000000BAE0: E0511000 80050045
	s_add_u32 m0, 0x400, s50                                   // 00000000BAE8: 807C32FF 00000400
	v_mfma_i32_16x16x32_i8 v[96:99], a[150:151], a[22:23], v[96:99]// 00000000BAF0: D3D70060 1D822D96
	v_mfma_i32_16x16x32_i8 v[132:135], a[152:153], a[16:17], v[132:135]// 00000000BAF8: D3D70084 1E122198
	buffer_load_dword v70, s[20:23], 0 offen lds               // 00000000BB00: E0511000 80050046
	s_add_u32 m0, 0x500, s50                                   // 00000000BB08: 807C32FF 00000500
	v_mfma_i32_16x16x32_i8 v[132:135], a[154:155], a[18:19], v[132:135]// 00000000BB10: D3D70084 1E12259A
	v_mfma_i32_16x16x32_i8 v[132:135], a[156:157], a[20:21], v[132:135]// 00000000BB18: D3D70084 1E12299C
	buffer_load_dword v71, s[20:23], 0 offen lds               // 00000000BB20: E0511000 80050047
	s_add_u32 m0, 0x600, s50                                   // 00000000BB28: 807C32FF 00000600
	v_mfma_i32_16x16x32_i8 v[132:135], a[158:159], a[22:23], v[132:135]// 00000000BB30: D3D70084 1E122D9E
	v_mfma_i32_16x16x32_i8 v[100:103], a[144:145], a[24:25], v[100:103]// 00000000BB38: D3D70064 1D923190
	buffer_load_dword v72, s[20:23], 0 offen lds               // 00000000BB40: E0511000 80050048
	s_add_u32 m0, 0x700, s50                                   // 00000000BB48: 807C32FF 00000700
	v_mfma_i32_16x16x32_i8 v[100:103], a[146:147], a[26:27], v[100:103]// 00000000BB50: D3D70064 1D923592
	v_mfma_i32_16x16x32_i8 v[100:103], a[148:149], a[28:29], v[100:103]// 00000000BB58: D3D70064 1D923994
	buffer_load_dword v73, s[20:23], 0 offen lds               // 00000000BB60: E0511000 80050049
	s_add_u32 m0, 0x800, s50                                   // 00000000BB68: 807C32FF 00000800
	v_mfma_i32_16x16x32_i8 v[100:103], a[150:151], a[30:31], v[100:103]// 00000000BB70: D3D70064 1D923D96
	v_mfma_i32_16x16x32_i8 v[136:139], a[152:153], a[24:25], v[136:139]// 00000000BB78: D3D70088 1E223198
	buffer_load_dword v74, s[20:23], 0 offen lds               // 00000000BB80: E0511000 8005004A
	s_add_u32 m0, 0x900, s50                                   // 00000000BB88: 807C32FF 00000900
	v_mfma_i32_16x16x32_i8 v[136:139], a[154:155], a[26:27], v[136:139]// 00000000BB90: D3D70088 1E22359A
	v_mfma_i32_16x16x32_i8 v[136:139], a[156:157], a[28:29], v[136:139]// 00000000BB98: D3D70088 1E22399C
	buffer_load_dword v75, s[20:23], 0 offen lds               // 00000000BBA0: E0511000 8005004B
	s_add_u32 m0, 0xa00, s50                                   // 00000000BBA8: 807C32FF 00000A00
	v_mfma_i32_16x16x32_i8 v[136:139], a[158:159], a[30:31], v[136:139]// 00000000BBB0: D3D70088 1E223D9E
	v_mfma_i32_16x16x32_i8 v[104:107], a[144:145], a[32:33], v[104:107]// 00000000BBB8: D3D70068 1DA24190
	buffer_load_dword v76, s[20:23], 0 offen lds               // 00000000BBC0: E0511000 8005004C
	s_add_u32 m0, 0xb00, s50                                   // 00000000BBC8: 807C32FF 00000B00
	v_mfma_i32_16x16x32_i8 v[104:107], a[146:147], a[34:35], v[104:107]// 00000000BBD0: D3D70068 1DA24592
	v_mfma_i32_16x16x32_i8 v[104:107], a[148:149], a[36:37], v[104:107]// 00000000BBD8: D3D70068 1DA24994
	buffer_load_dword v77, s[20:23], 0 offen lds               // 00000000BBE0: E0511000 8005004D
	s_add_u32 m0, 0xc00, s50                                   // 00000000BBE8: 807C32FF 00000C00
	v_mfma_i32_16x16x32_i8 v[104:107], a[150:151], a[38:39], v[104:107]// 00000000BBF0: D3D70068 1DA24D96
	v_mfma_i32_16x16x32_i8 v[140:143], a[152:153], a[32:33], v[140:143]// 00000000BBF8: D3D7008C 1E324198
	buffer_load_dword v78, s[20:23], 0 offen lds               // 00000000BC00: E0511000 8005004E
	s_add_u32 m0, 0xd00, s50                                   // 00000000BC08: 807C32FF 00000D00
	v_mfma_i32_16x16x32_i8 v[140:143], a[154:155], a[34:35], v[140:143]// 00000000BC10: D3D7008C 1E32459A
	v_mfma_i32_16x16x32_i8 v[140:143], a[156:157], a[36:37], v[140:143]// 00000000BC18: D3D7008C 1E32499C
	buffer_load_dword v79, s[20:23], 0 offen lds               // 00000000BC20: E0511000 8005004F
	s_add_u32 m0, 0xe00, s50                                   // 00000000BC28: 807C32FF 00000E00
	v_mfma_i32_16x16x32_i8 v[140:143], a[158:159], a[38:39], v[140:143]// 00000000BC30: D3D7008C 1E324D9E
	v_mfma_i32_16x16x32_i8 v[108:111], a[144:145], a[40:41], v[108:111]// 00000000BC38: D3D7006C 1DB25190
	buffer_load_dword v80, s[20:23], 0 offen lds               // 00000000BC40: E0511000 80050050
	s_add_u32 m0, 0xf00, s50                                   // 00000000BC48: 807C32FF 00000F00
	v_mfma_i32_16x16x32_i8 v[108:111], a[146:147], a[42:43], v[108:111]// 00000000BC50: D3D7006C 1DB25592
	v_mfma_i32_16x16x32_i8 v[108:111], a[148:149], a[44:45], v[108:111]// 00000000BC58: D3D7006C 1DB25994
	buffer_load_dword v81, s[20:23], 0 offen lds               // 00000000BC60: E0511000 80050051
	s_add_u32 m0, 0x1000, s50                                  // 00000000BC68: 807C32FF 00001000
	v_mfma_i32_16x16x32_i8 v[108:111], a[150:151], a[46:47], v[108:111]// 00000000BC70: D3D7006C 1DB25D96
	v_mfma_i32_16x16x32_i8 v[144:147], a[152:153], a[40:41], v[144:147]// 00000000BC78: D3D70090 1E425198
	buffer_load_dword v82, s[20:23], 0 offen lds               // 00000000BC80: E0511000 80050052
	s_add_u32 m0, 0x1100, s50                                  // 00000000BC88: 807C32FF 00001100
	v_mfma_i32_16x16x32_i8 v[144:147], a[154:155], a[42:43], v[144:147]// 00000000BC90: D3D70090 1E42559A
	v_mfma_i32_16x16x32_i8 v[144:147], a[156:157], a[44:45], v[144:147]// 00000000BC98: D3D70090 1E42599C
	buffer_load_dword v83, s[20:23], 0 offen lds               // 00000000BCA0: E0511000 80050053
	s_add_u32 m0, 0, s48                                       // 00000000BCA8: 807C3080
	v_mfma_i32_16x16x32_i8 v[144:147], a[158:159], a[46:47], v[144:147]// 00000000BCAC: D3D70090 1E425D9E
	v_mfma_i32_16x16x32_i8 v[112:115], a[144:145], a[48:49], v[112:115]// 00000000BCB4: D3D70070 1DC26190
	v_mfma_i32_16x16x32_i8 v[112:115], a[146:147], a[50:51], v[112:115]// 00000000BCBC: D3D70070 1DC26592
	v_mfma_i32_16x16x32_i8 v[112:115], a[148:149], a[52:53], v[112:115]// 00000000BCC4: D3D70070 1DC26994
	v_mfma_i32_16x16x32_i8 v[112:115], a[150:151], a[54:55], v[112:115]// 00000000BCCC: D3D70070 1DC26D96
	v_mfma_i32_16x16x32_i8 v[148:151], a[152:153], a[48:49], v[148:151]// 00000000BCD4: D3D70094 1E526198
	v_mfma_i32_16x16x32_i8 v[148:151], a[154:155], a[50:51], v[148:151]// 00000000BCDC: D3D70094 1E52659A
	v_mfma_i32_16x16x32_i8 v[148:151], a[156:157], a[52:53], v[148:151]// 00000000BCE4: D3D70094 1E52699C
	v_mfma_i32_16x16x32_i8 v[148:151], a[158:159], a[54:55], v[148:151]// 00000000BCEC: D3D70094 1E526D9E
	v_mfma_i32_16x16x32_i8 v[116:119], a[144:145], a[56:57], v[116:119]// 00000000BCF4: D3D70074 1DD27190
	v_mfma_i32_16x16x32_i8 v[116:119], a[146:147], a[58:59], v[116:119]// 00000000BCFC: D3D70074 1DD27592
	v_mfma_i32_16x16x32_i8 v[116:119], a[148:149], a[60:61], v[116:119]// 00000000BD04: D3D70074 1DD27994
	v_mfma_i32_16x16x32_i8 v[116:119], a[150:151], a[62:63], v[116:119]// 00000000BD0C: D3D70074 1DD27D96
	v_mfma_i32_16x16x32_i8 v[152:155], a[152:153], a[56:57], v[152:155]// 00000000BD14: D3D70098 1E627198
	v_mfma_i32_16x16x32_i8 v[152:155], a[154:155], a[58:59], v[152:155]// 00000000BD1C: D3D70098 1E62759A
	v_mfma_i32_16x16x32_i8 v[152:155], a[156:157], a[60:61], v[152:155]// 00000000BD24: D3D70098 1E62799C
	v_mfma_i32_16x16x32_i8 v[152:155], a[158:159], a[62:63], v[152:155]// 00000000BD2C: D3D70098 1E627D9E
	v_mfma_i32_16x16x32_i8 v[120:123], a[144:145], a[64:65], v[120:123]// 00000000BD34: D3D70078 1DE28190
	v_mfma_i32_16x16x32_i8 v[120:123], a[146:147], a[66:67], v[120:123]// 00000000BD3C: D3D70078 1DE28592
	v_mfma_i32_16x16x32_i8 v[120:123], a[148:149], a[68:69], v[120:123]// 00000000BD44: D3D70078 1DE28994
	v_mfma_i32_16x16x32_i8 v[120:123], a[150:151], a[70:71], v[120:123]// 00000000BD4C: D3D70078 1DE28D96
	v_mfma_i32_16x16x32_i8 v[156:159], a[152:153], a[64:65], v[156:159]// 00000000BD54: D3D7009C 1E728198
	v_mfma_i32_16x16x32_i8 v[156:159], a[154:155], a[66:67], v[156:159]// 00000000BD5C: D3D7009C 1E72859A
	v_mfma_i32_16x16x32_i8 v[156:159], a[156:157], a[68:69], v[156:159]// 00000000BD64: D3D7009C 1E72899C
	v_mfma_i32_16x16x32_i8 v[156:159], a[158:159], a[70:71], v[156:159]// 00000000BD6C: D3D7009C 1E728D9E
	s_waitcnt vmcnt(22)                                        // 00000000BD74: BF8C4F76
	s_barrier                                                  // 00000000BD78: BF8A0000
	v_mfma_i32_16x16x32_i8 v[160:163], a[160:161], a[0:1], v[160:163]// 00000000BD7C: D3D700A0 1E8201A0
	buffer_load_dwordx4 a[144:147], v84, s[84:87], 0 offen     // 00000000BD84: E05C1000 80959054
	v_mfma_i32_16x16x32_i8 v[160:163], a[162:163], a[2:3], v[160:163]// 00000000BD8C: D3D700A0 1E8205A2
	v_mfma_i32_16x16x32_i8 v[160:163], a[164:165], a[4:5], v[160:163]// 00000000BD94: D3D700A0 1E8209A4
	ds_read_b128 a[72:75], v2 offset:18560                     // 00000000BD9C: DBFE4880 48000002
	ds_read_b128 a[76:79], v2 offset:18624                     // 00000000BDA4: DBFE48C0 4C000002
	v_mfma_i32_16x16x32_i8 v[160:163], a[166:167], a[6:7], v[160:163]// 00000000BDAC: D3D700A0 1E820DA6
	v_mfma_i32_16x16x32_i8 v[196:199], a[168:169], a[0:1], v[196:199]// 00000000BDB4: D3D700C4 1F1201A8
	buffer_load_dwordx4 a[148:151], v84, s[84:87], 0 offen offset:1024// 00000000BDBC: E05C1400 80959454
	v_mfma_i32_16x16x32_i8 v[196:199], a[170:171], a[2:3], v[196:199]// 00000000BDC4: D3D700C4 1F1205AA
	v_mfma_i32_16x16x32_i8 v[196:199], a[172:173], a[4:5], v[196:199]// 00000000BDCC: D3D700C4 1F1209AC
	ds_read_b128 a[80:83], v2 offset:19072                     // 00000000BDD4: DBFE4A80 50000002
	ds_read_b128 a[84:87], v2 offset:19136                     // 00000000BDDC: DBFE4AC0 54000002
	v_mfma_i32_16x16x32_i8 v[196:199], a[174:175], a[6:7], v[196:199]// 00000000BDE4: D3D700C4 1F120DAE
	v_mfma_i32_16x16x32_i8 v[164:167], a[160:161], a[8:9], v[164:167]// 00000000BDEC: D3D700A4 1E9211A0
	buffer_load_dwordx4 a[152:155], v85, s[84:87], 0 offen     // 00000000BDF4: E05C1000 80959855
	v_mfma_i32_16x16x32_i8 v[164:167], a[162:163], a[10:11], v[164:167]// 00000000BDFC: D3D700A4 1E9215A2
	v_mfma_i32_16x16x32_i8 v[164:167], a[164:165], a[12:13], v[164:167]// 00000000BE04: D3D700A4 1E9219A4
	ds_read_b128 a[88:91], v2 offset:19584                     // 00000000BE0C: DBFE4C80 58000002
	ds_read_b128 a[92:95], v2 offset:19648                     // 00000000BE14: DBFE4CC0 5C000002
	v_mfma_i32_16x16x32_i8 v[164:167], a[166:167], a[14:15], v[164:167]// 00000000BE1C: D3D700A4 1E921DA6
	v_mfma_i32_16x16x32_i8 v[200:203], a[168:169], a[8:9], v[200:203]// 00000000BE24: D3D700C8 1F2211A8
	buffer_load_dwordx4 a[156:159], v85, s[84:87], 0 offen offset:1024// 00000000BE2C: E05C1400 80959C55
	v_mfma_i32_16x16x32_i8 v[200:203], a[170:171], a[10:11], v[200:203]// 00000000BE34: D3D700C8 1F2215AA
	v_mfma_i32_16x16x32_i8 v[200:203], a[172:173], a[12:13], v[200:203]// 00000000BE3C: D3D700C8 1F2219AC
	ds_read_b128 a[96:99], v2 offset:20096                     // 00000000BE44: DBFE4E80 60000002
	ds_read_b128 a[100:103], v2 offset:20160                   // 00000000BE4C: DBFE4EC0 64000002
	v_mfma_i32_16x16x32_i8 v[200:203], a[174:175], a[14:15], v[200:203]// 00000000BE54: D3D700C8 1F221DAE
	v_mfma_i32_16x16x32_i8 v[168:171], a[160:161], a[16:17], v[168:171]// 00000000BE5C: D3D700A8 1EA221A0
	v_mfma_i32_16x16x32_i8 v[168:171], a[162:163], a[18:19], v[168:171]// 00000000BE64: D3D700A8 1EA225A2
	v_mfma_i32_16x16x32_i8 v[168:171], a[164:165], a[20:21], v[168:171]// 00000000BE6C: D3D700A8 1EA229A4
	ds_read_b128 a[104:107], v2 offset:20608                   // 00000000BE74: DBFE5080 68000002
	ds_read_b128 a[108:111], v2 offset:20672                   // 00000000BE7C: DBFE50C0 6C000002
	v_mfma_i32_16x16x32_i8 v[168:171], a[166:167], a[22:23], v[168:171]// 00000000BE84: D3D700A8 1EA22DA6
	v_mfma_i32_16x16x32_i8 v[204:207], a[168:169], a[16:17], v[204:207]// 00000000BE8C: D3D700CC 1F3221A8
	v_mfma_i32_16x16x32_i8 v[204:207], a[170:171], a[18:19], v[204:207]// 00000000BE94: D3D700CC 1F3225AA
	v_mfma_i32_16x16x32_i8 v[204:207], a[172:173], a[20:21], v[204:207]// 00000000BE9C: D3D700CC 1F3229AC
	ds_read_b128 a[112:115], v2 offset:21120                   // 00000000BEA4: DBFE5280 70000002
	ds_read_b128 a[116:119], v2 offset:21184                   // 00000000BEAC: DBFE52C0 74000002
	v_mfma_i32_16x16x32_i8 v[204:207], a[174:175], a[22:23], v[204:207]// 00000000BEB4: D3D700CC 1F322DAE
	v_mfma_i32_16x16x32_i8 v[172:175], a[160:161], a[24:25], v[172:175]// 00000000BEBC: D3D700AC 1EB231A0
	v_mfma_i32_16x16x32_i8 v[172:175], a[162:163], a[26:27], v[172:175]// 00000000BEC4: D3D700AC 1EB235A2
	v_mfma_i32_16x16x32_i8 v[172:175], a[164:165], a[28:29], v[172:175]// 00000000BECC: D3D700AC 1EB239A4
	ds_read_b128 a[120:123], v2 offset:21632                   // 00000000BED4: DBFE5480 78000002
	ds_read_b128 a[124:127], v2 offset:21696                   // 00000000BEDC: DBFE54C0 7C000002
	v_mfma_i32_16x16x32_i8 v[172:175], a[166:167], a[30:31], v[172:175]// 00000000BEE4: D3D700AC 1EB23DA6
	v_mfma_i32_16x16x32_i8 v[208:211], a[168:169], a[24:25], v[208:211]// 00000000BEEC: D3D700D0 1F4231A8
	v_mfma_i32_16x16x32_i8 v[208:211], a[170:171], a[26:27], v[208:211]// 00000000BEF4: D3D700D0 1F4235AA
	v_mfma_i32_16x16x32_i8 v[208:211], a[172:173], a[28:29], v[208:211]// 00000000BEFC: D3D700D0 1F4239AC
	ds_read_b128 a[128:131], v2 offset:22144                   // 00000000BF04: DBFE5680 80000002
	ds_read_b128 a[132:135], v2 offset:22208                   // 00000000BF0C: DBFE56C0 84000002
	v_mfma_i32_16x16x32_i8 v[208:211], a[174:175], a[30:31], v[208:211]// 00000000BF14: D3D700D0 1F423DAE
	v_mfma_i32_16x16x32_i8 v[176:179], a[160:161], a[32:33], v[176:179]// 00000000BF1C: D3D700B0 1EC241A0
	v_mfma_i32_16x16x32_i8 v[176:179], a[162:163], a[34:35], v[176:179]// 00000000BF24: D3D700B0 1EC245A2
	v_mfma_i32_16x16x32_i8 v[176:179], a[164:165], a[36:37], v[176:179]// 00000000BF2C: D3D700B0 1EC249A4
	ds_read_b128 a[136:139], v2 offset:22656                   // 00000000BF34: DBFE5880 88000002
	ds_read_b128 a[140:143], v2 offset:22720                   // 00000000BF3C: DBFE58C0 8C000002
	v_mfma_i32_16x16x32_i8 v[176:179], a[166:167], a[38:39], v[176:179]// 00000000BF44: D3D700B0 1EC24DA6
	v_mfma_i32_16x16x32_i8 v[212:215], a[168:169], a[32:33], v[212:215]// 00000000BF4C: D3D700D4 1F5241A8
	v_mfma_i32_16x16x32_i8 v[212:215], a[170:171], a[34:35], v[212:215]// 00000000BF54: D3D700D4 1F5245AA
	v_mfma_i32_16x16x32_i8 v[212:215], a[172:173], a[36:37], v[212:215]// 00000000BF5C: D3D700D4 1F5249AC
	v_mfma_i32_16x16x32_i8 v[212:215], a[174:175], a[38:39], v[212:215]// 00000000BF64: D3D700D4 1F524DAE
	v_mfma_i32_16x16x32_i8 v[180:183], a[160:161], a[40:41], v[180:183]// 00000000BF6C: D3D700B4 1ED251A0
	v_mfma_i32_16x16x32_i8 v[180:183], a[162:163], a[42:43], v[180:183]// 00000000BF74: D3D700B4 1ED255A2
	v_mfma_i32_16x16x32_i8 v[180:183], a[164:165], a[44:45], v[180:183]// 00000000BF7C: D3D700B4 1ED259A4
	v_mfma_i32_16x16x32_i8 v[180:183], a[166:167], a[46:47], v[180:183]// 00000000BF84: D3D700B4 1ED25DA6
	v_mfma_i32_16x16x32_i8 v[216:219], a[168:169], a[40:41], v[216:219]// 00000000BF8C: D3D700D8 1F6251A8
	v_mfma_i32_16x16x32_i8 v[216:219], a[170:171], a[42:43], v[216:219]// 00000000BF94: D3D700D8 1F6255AA
	v_mfma_i32_16x16x32_i8 v[216:219], a[172:173], a[44:45], v[216:219]// 00000000BF9C: D3D700D8 1F6259AC
	v_mfma_i32_16x16x32_i8 v[216:219], a[174:175], a[46:47], v[216:219]// 00000000BFA4: D3D700D8 1F625DAE
	v_mfma_i32_16x16x32_i8 v[184:187], a[160:161], a[48:49], v[184:187]// 00000000BFAC: D3D700B8 1EE261A0
	v_mfma_i32_16x16x32_i8 v[184:187], a[162:163], a[50:51], v[184:187]// 00000000BFB4: D3D700B8 1EE265A2
	v_mfma_i32_16x16x32_i8 v[184:187], a[164:165], a[52:53], v[184:187]// 00000000BFBC: D3D700B8 1EE269A4
	v_mfma_i32_16x16x32_i8 v[184:187], a[166:167], a[54:55], v[184:187]// 00000000BFC4: D3D700B8 1EE26DA6
	v_mfma_i32_16x16x32_i8 v[220:223], a[168:169], a[48:49], v[220:223]// 00000000BFCC: D3D700DC 1F7261A8
	v_mfma_i32_16x16x32_i8 v[220:223], a[170:171], a[50:51], v[220:223]// 00000000BFD4: D3D700DC 1F7265AA
	v_mfma_i32_16x16x32_i8 v[220:223], a[172:173], a[52:53], v[220:223]// 00000000BFDC: D3D700DC 1F7269AC
	v_mfma_i32_16x16x32_i8 v[220:223], a[174:175], a[54:55], v[220:223]// 00000000BFE4: D3D700DC 1F726DAE
	v_mfma_i32_16x16x32_i8 v[188:191], a[160:161], a[56:57], v[188:191]// 00000000BFEC: D3D700BC 1EF271A0
	v_mfma_i32_16x16x32_i8 v[188:191], a[162:163], a[58:59], v[188:191]// 00000000BFF4: D3D700BC 1EF275A2
	v_mfma_i32_16x16x32_i8 v[188:191], a[164:165], a[60:61], v[188:191]// 00000000BFFC: D3D700BC 1EF279A4
	v_mfma_i32_16x16x32_i8 v[188:191], a[166:167], a[62:63], v[188:191]// 00000000C004: D3D700BC 1EF27DA6
	v_mfma_i32_16x16x32_i8 v[224:227], a[168:169], a[56:57], v[224:227]// 00000000C00C: D3D700E0 1F8271A8
	v_mfma_i32_16x16x32_i8 v[224:227], a[170:171], a[58:59], v[224:227]// 00000000C014: D3D700E0 1F8275AA
	v_mfma_i32_16x16x32_i8 v[224:227], a[172:173], a[60:61], v[224:227]// 00000000C01C: D3D700E0 1F8279AC
	v_mfma_i32_16x16x32_i8 v[224:227], a[174:175], a[62:63], v[224:227]// 00000000C024: D3D700E0 1F827DAE
	v_mfma_i32_16x16x32_i8 v[192:195], a[160:161], a[64:65], v[192:195]// 00000000C02C: D3D700C0 1F0281A0
	s_add_u32 s60, 0x180, s80                                  // 00000000C034: 803C50FF 00000180
	s_cmp_lt_u32 s60, s81                                      // 00000000C03C: BF0A513C
	s_cselect_b32 s57, s57, 0                                  // 00000000C040: 85398039
	v_mfma_i32_16x16x32_i8 v[192:195], a[162:163], a[66:67], v[192:195]// 00000000C044: D3D700C0 1F0285A2
	s_add_u32 s60, 0x100, s80                                  // 00000000C04C: 803C50FF 00000100
	s_cmp_lt_u32 s60, s81                                      // 00000000C054: BF0A513C
	s_cselect_b32 s58, s58, 0                                  // 00000000C058: 853A803A
	v_mfma_i32_16x16x32_i8 v[192:195], a[164:165], a[68:69], v[192:195]// 00000000C05C: D3D700C0 1F0289A4
	s_add_u32 s60, 0x100, s80                                  // 00000000C064: 803C50FF 00000100
	s_cmp_lt_u32 s60, s81                                      // 00000000C06C: BF0A513C
	s_cselect_b32 s83, s83, 0                                  // 00000000C070: 85538053
	v_mfma_i32_16x16x32_i8 v[192:195], a[166:167], a[70:71], v[192:195]// 00000000C074: D3D700C0 1F028DA6
	s_add_u32 s24, s58, s24                                    // 00000000C07C: 8018183A
	s_addc_u32 s25, 0, s25                                     // 00000000C080: 82191980
	v_mfma_i32_16x16x32_i8 v[228:231], a[168:169], a[64:65], v[228:231]// 00000000C084: D3D700E4 1F9281A8
	s_add_u32 s20, s57, s20                                    // 00000000C08C: 80141439
	s_addc_u32 s21, 0, s21                                     // 00000000C090: 82151580
	v_mfma_i32_16x16x32_i8 v[228:231], a[170:171], a[66:67], v[228:231]// 00000000C094: D3D700E4 1F9285AA
	s_add_u32 s84, s83, s84                                    // 00000000C09C: 80545453
	s_addc_u32 s85, 0, s85                                     // 00000000C0A0: 82555580
	v_mfma_i32_16x16x32_i8 v[228:231], a[172:173], a[68:69], v[228:231]// 00000000C0A4: D3D700E4 1F9289AC
	v_mfma_i32_16x16x32_i8 v[228:231], a[174:175], a[70:71], v[228:231]// 00000000C0AC: D3D700E4 1F928DAE
	s_addk_i32 s80, 0x80                                       // 00000000C0B4: B7500080
	s_cmp_lt_i32 s80, s81                                      // 00000000C0B8: BF045150
	s_cbranch_scc0 label_2E33                                  // 00000000C0BC: BF840880
	s_waitcnt vmcnt(22) lgkmcnt(0)                             // 00000000C0C0: BF8C4076
	v_mfma_i32_16x16x32_i8 v[88:91], a[176:177], a[72:73], v[88:91]// 00000000C0C4: D3D70058 1D6291B0
	buffer_load_dwordx4 a[160:163], v84, s[24:27], 0 offen     // 00000000C0CC: E05C1000 8086A054
	v_mfma_i32_16x16x32_i8 v[88:91], a[178:179], a[74:75], v[88:91]// 00000000C0D4: D3D70058 1D6295B2
	v_mfma_i32_16x16x32_i8 v[88:91], a[180:181], a[76:77], v[88:91]// 00000000C0DC: D3D70058 1D6299B4
	v_mfma_i32_16x16x32_i8 v[88:91], a[182:183], a[78:79], v[88:91]// 00000000C0E4: D3D70058 1D629DB6
	v_mfma_i32_16x16x32_i8 v[124:127], a[184:185], a[72:73], v[124:127]// 00000000C0EC: D3D7007C 1DF291B8
	buffer_load_dwordx4 a[164:167], v84, s[24:27], 0 offen offset:1024// 00000000C0F4: E05C1400 8086A454
	v_mfma_i32_16x16x32_i8 v[124:127], a[186:187], a[74:75], v[124:127]// 00000000C0FC: D3D7007C 1DF295BA
	v_mfma_i32_16x16x32_i8 v[124:127], a[188:189], a[76:77], v[124:127]// 00000000C104: D3D7007C 1DF299BC
	v_mfma_i32_16x16x32_i8 v[124:127], a[190:191], a[78:79], v[124:127]// 00000000C10C: D3D7007C 1DF29DBE
	v_mfma_i32_16x16x32_i8 v[92:95], a[176:177], a[80:81], v[92:95]// 00000000C114: D3D7005C 1D72A1B0
	buffer_load_dwordx4 a[168:171], v85, s[24:27], 0 offen     // 00000000C11C: E05C1000 8086A855
	v_mfma_i32_16x16x32_i8 v[92:95], a[178:179], a[82:83], v[92:95]// 00000000C124: D3D7005C 1D72A5B2
	v_mfma_i32_16x16x32_i8 v[92:95], a[180:181], a[84:85], v[92:95]// 00000000C12C: D3D7005C 1D72A9B4
	v_mfma_i32_16x16x32_i8 v[92:95], a[182:183], a[86:87], v[92:95]// 00000000C134: D3D7005C 1D72ADB6
	v_mfma_i32_16x16x32_i8 v[128:131], a[184:185], a[80:81], v[128:131]// 00000000C13C: D3D70080 1E02A1B8
	buffer_load_dwordx4 a[172:175], v85, s[24:27], 0 offen offset:1024// 00000000C144: E05C1400 8086AC55
	buffer_load_dword v66, s[20:23], 0 offen lds               // 00000000C14C: E0511000 80050042
	s_add_u32 m0, 0x100, s48                                   // 00000000C154: 807C30FF 00000100
	v_mfma_i32_16x16x32_i8 v[128:131], a[186:187], a[82:83], v[128:131]// 00000000C15C: D3D70080 1E02A5BA
	v_mfma_i32_16x16x32_i8 v[128:131], a[188:189], a[84:85], v[128:131]// 00000000C164: D3D70080 1E02A9BC
	buffer_load_dword v67, s[20:23], 0 offen lds               // 00000000C16C: E0511000 80050043
	s_add_u32 m0, 0x200, s48                                   // 00000000C174: 807C30FF 00000200
	v_mfma_i32_16x16x32_i8 v[128:131], a[190:191], a[86:87], v[128:131]// 00000000C17C: D3D70080 1E02ADBE
	v_mfma_i32_16x16x32_i8 v[96:99], a[176:177], a[88:89], v[96:99]// 00000000C184: D3D70060 1D82B1B0
	buffer_load_dword v68, s[20:23], 0 offen lds               // 00000000C18C: E0511000 80050044
	s_add_u32 m0, 0x300, s48                                   // 00000000C194: 807C30FF 00000300
	v_mfma_i32_16x16x32_i8 v[96:99], a[178:179], a[90:91], v[96:99]// 00000000C19C: D3D70060 1D82B5B2
	v_mfma_i32_16x16x32_i8 v[96:99], a[180:181], a[92:93], v[96:99]// 00000000C1A4: D3D70060 1D82B9B4
	buffer_load_dword v69, s[20:23], 0 offen lds               // 00000000C1AC: E0511000 80050045
	s_add_u32 m0, 0x400, s48                                   // 00000000C1B4: 807C30FF 00000400
	v_mfma_i32_16x16x32_i8 v[96:99], a[182:183], a[94:95], v[96:99]// 00000000C1BC: D3D70060 1D82BDB6
	v_mfma_i32_16x16x32_i8 v[132:135], a[184:185], a[88:89], v[132:135]// 00000000C1C4: D3D70084 1E12B1B8
	buffer_load_dword v70, s[20:23], 0 offen lds               // 00000000C1CC: E0511000 80050046
	s_add_u32 m0, 0x500, s48                                   // 00000000C1D4: 807C30FF 00000500
	v_mfma_i32_16x16x32_i8 v[132:135], a[186:187], a[90:91], v[132:135]// 00000000C1DC: D3D70084 1E12B5BA
	v_mfma_i32_16x16x32_i8 v[132:135], a[188:189], a[92:93], v[132:135]// 00000000C1E4: D3D70084 1E12B9BC
	buffer_load_dword v71, s[20:23], 0 offen lds               // 00000000C1EC: E0511000 80050047
	s_add_u32 m0, 0x600, s48                                   // 00000000C1F4: 807C30FF 00000600
	v_mfma_i32_16x16x32_i8 v[132:135], a[190:191], a[94:95], v[132:135]// 00000000C1FC: D3D70084 1E12BDBE
	v_mfma_i32_16x16x32_i8 v[100:103], a[176:177], a[96:97], v[100:103]// 00000000C204: D3D70064 1D92C1B0
	buffer_load_dword v72, s[20:23], 0 offen lds               // 00000000C20C: E0511000 80050048
	s_add_u32 m0, 0x700, s48                                   // 00000000C214: 807C30FF 00000700
	v_mfma_i32_16x16x32_i8 v[100:103], a[178:179], a[98:99], v[100:103]// 00000000C21C: D3D70064 1D92C5B2
	v_mfma_i32_16x16x32_i8 v[100:103], a[180:181], a[100:101], v[100:103]// 00000000C224: D3D70064 1D92C9B4
	buffer_load_dword v73, s[20:23], 0 offen lds               // 00000000C22C: E0511000 80050049
	s_add_u32 m0, 0x800, s48                                   // 00000000C234: 807C30FF 00000800
	v_mfma_i32_16x16x32_i8 v[100:103], a[182:183], a[102:103], v[100:103]// 00000000C23C: D3D70064 1D92CDB6
	v_mfma_i32_16x16x32_i8 v[136:139], a[184:185], a[96:97], v[136:139]// 00000000C244: D3D70088 1E22C1B8
	buffer_load_dword v74, s[20:23], 0 offen lds               // 00000000C24C: E0511000 8005004A
	s_add_u32 m0, 0x900, s48                                   // 00000000C254: 807C30FF 00000900
	v_mfma_i32_16x16x32_i8 v[136:139], a[186:187], a[98:99], v[136:139]// 00000000C25C: D3D70088 1E22C5BA
	v_mfma_i32_16x16x32_i8 v[136:139], a[188:189], a[100:101], v[136:139]// 00000000C264: D3D70088 1E22C9BC
	buffer_load_dword v75, s[20:23], 0 offen lds               // 00000000C26C: E0511000 8005004B
	s_add_u32 m0, 0xa00, s48                                   // 00000000C274: 807C30FF 00000A00
	v_mfma_i32_16x16x32_i8 v[136:139], a[190:191], a[102:103], v[136:139]// 00000000C27C: D3D70088 1E22CDBE
	v_mfma_i32_16x16x32_i8 v[104:107], a[176:177], a[104:105], v[104:107]// 00000000C284: D3D70068 1DA2D1B0
	buffer_load_dword v76, s[20:23], 0 offen lds               // 00000000C28C: E0511000 8005004C
	s_add_u32 m0, 0xb00, s48                                   // 00000000C294: 807C30FF 00000B00
	v_mfma_i32_16x16x32_i8 v[104:107], a[178:179], a[106:107], v[104:107]// 00000000C29C: D3D70068 1DA2D5B2
	v_mfma_i32_16x16x32_i8 v[104:107], a[180:181], a[108:109], v[104:107]// 00000000C2A4: D3D70068 1DA2D9B4
	buffer_load_dword v77, s[20:23], 0 offen lds               // 00000000C2AC: E0511000 8005004D
	s_add_u32 m0, 0xc00, s48                                   // 00000000C2B4: 807C30FF 00000C00
	v_mfma_i32_16x16x32_i8 v[104:107], a[182:183], a[110:111], v[104:107]// 00000000C2BC: D3D70068 1DA2DDB6
	v_mfma_i32_16x16x32_i8 v[140:143], a[184:185], a[104:105], v[140:143]// 00000000C2C4: D3D7008C 1E32D1B8
	buffer_load_dword v78, s[20:23], 0 offen lds               // 00000000C2CC: E0511000 8005004E
	s_add_u32 m0, 0xd00, s48                                   // 00000000C2D4: 807C30FF 00000D00
	v_mfma_i32_16x16x32_i8 v[140:143], a[186:187], a[106:107], v[140:143]// 00000000C2DC: D3D7008C 1E32D5BA
	v_mfma_i32_16x16x32_i8 v[140:143], a[188:189], a[108:109], v[140:143]// 00000000C2E4: D3D7008C 1E32D9BC
	buffer_load_dword v79, s[20:23], 0 offen lds               // 00000000C2EC: E0511000 8005004F
	s_add_u32 m0, 0xe00, s48                                   // 00000000C2F4: 807C30FF 00000E00
	v_mfma_i32_16x16x32_i8 v[140:143], a[190:191], a[110:111], v[140:143]// 00000000C2FC: D3D7008C 1E32DDBE
	v_mfma_i32_16x16x32_i8 v[108:111], a[176:177], a[112:113], v[108:111]// 00000000C304: D3D7006C 1DB2E1B0
	buffer_load_dword v80, s[20:23], 0 offen lds               // 00000000C30C: E0511000 80050050
	s_add_u32 m0, 0xf00, s48                                   // 00000000C314: 807C30FF 00000F00
	v_mfma_i32_16x16x32_i8 v[108:111], a[178:179], a[114:115], v[108:111]// 00000000C31C: D3D7006C 1DB2E5B2
	v_mfma_i32_16x16x32_i8 v[108:111], a[180:181], a[116:117], v[108:111]// 00000000C324: D3D7006C 1DB2E9B4
	buffer_load_dword v81, s[20:23], 0 offen lds               // 00000000C32C: E0511000 80050051
	s_add_u32 m0, 0x1000, s48                                  // 00000000C334: 807C30FF 00001000
	v_mfma_i32_16x16x32_i8 v[108:111], a[182:183], a[118:119], v[108:111]// 00000000C33C: D3D7006C 1DB2EDB6
	v_mfma_i32_16x16x32_i8 v[144:147], a[184:185], a[112:113], v[144:147]// 00000000C344: D3D70090 1E42E1B8
	buffer_load_dword v82, s[20:23], 0 offen lds               // 00000000C34C: E0511000 80050052
	s_add_u32 m0, 0x1100, s48                                  // 00000000C354: 807C30FF 00001100
	v_mfma_i32_16x16x32_i8 v[144:147], a[186:187], a[114:115], v[144:147]// 00000000C35C: D3D70090 1E42E5BA
	v_mfma_i32_16x16x32_i8 v[144:147], a[188:189], a[116:117], v[144:147]// 00000000C364: D3D70090 1E42E9BC
	buffer_load_dword v83, s[20:23], 0 offen lds               // 00000000C36C: E0511000 80050053
	s_add_u32 m0, 0, s49                                       // 00000000C374: 807C3180
	v_mfma_i32_16x16x32_i8 v[144:147], a[190:191], a[118:119], v[144:147]// 00000000C378: D3D70090 1E42EDBE
	v_mfma_i32_16x16x32_i8 v[112:115], a[176:177], a[120:121], v[112:115]// 00000000C380: D3D70070 1DC2F1B0
	v_mfma_i32_16x16x32_i8 v[112:115], a[178:179], a[122:123], v[112:115]// 00000000C388: D3D70070 1DC2F5B2
	v_mfma_i32_16x16x32_i8 v[112:115], a[180:181], a[124:125], v[112:115]// 00000000C390: D3D70070 1DC2F9B4
	v_mfma_i32_16x16x32_i8 v[112:115], a[182:183], a[126:127], v[112:115]// 00000000C398: D3D70070 1DC2FDB6
	v_mfma_i32_16x16x32_i8 v[148:151], a[184:185], a[120:121], v[148:151]// 00000000C3A0: D3D70094 1E52F1B8
	v_mfma_i32_16x16x32_i8 v[148:151], a[186:187], a[122:123], v[148:151]// 00000000C3A8: D3D70094 1E52F5BA
	v_mfma_i32_16x16x32_i8 v[148:151], a[188:189], a[124:125], v[148:151]// 00000000C3B0: D3D70094 1E52F9BC
	v_mfma_i32_16x16x32_i8 v[148:151], a[190:191], a[126:127], v[148:151]// 00000000C3B8: D3D70094 1E52FDBE
	v_mfma_i32_16x16x32_i8 v[116:119], a[176:177], a[128:129], v[116:119]// 00000000C3C0: D3D70074 1DD301B0
	v_mfma_i32_16x16x32_i8 v[116:119], a[178:179], a[130:131], v[116:119]// 00000000C3C8: D3D70074 1DD305B2
	v_mfma_i32_16x16x32_i8 v[116:119], a[180:181], a[132:133], v[116:119]// 00000000C3D0: D3D70074 1DD309B4
	v_mfma_i32_16x16x32_i8 v[116:119], a[182:183], a[134:135], v[116:119]// 00000000C3D8: D3D70074 1DD30DB6
	v_mfma_i32_16x16x32_i8 v[152:155], a[184:185], a[128:129], v[152:155]// 00000000C3E0: D3D70098 1E6301B8
	v_mfma_i32_16x16x32_i8 v[152:155], a[186:187], a[130:131], v[152:155]// 00000000C3E8: D3D70098 1E6305BA
	v_mfma_i32_16x16x32_i8 v[152:155], a[188:189], a[132:133], v[152:155]// 00000000C3F0: D3D70098 1E6309BC
	v_mfma_i32_16x16x32_i8 v[152:155], a[190:191], a[134:135], v[152:155]// 00000000C3F8: D3D70098 1E630DBE
	v_mfma_i32_16x16x32_i8 v[120:123], a[176:177], a[136:137], v[120:123]// 00000000C400: D3D70078 1DE311B0
	v_mfma_i32_16x16x32_i8 v[120:123], a[178:179], a[138:139], v[120:123]// 00000000C408: D3D70078 1DE315B2
	v_mfma_i32_16x16x32_i8 v[120:123], a[180:181], a[140:141], v[120:123]// 00000000C410: D3D70078 1DE319B4
	v_mfma_i32_16x16x32_i8 v[120:123], a[182:183], a[142:143], v[120:123]// 00000000C418: D3D70078 1DE31DB6
	v_mfma_i32_16x16x32_i8 v[156:159], a[184:185], a[136:137], v[156:159]// 00000000C420: D3D7009C 1E7311B8
	v_mfma_i32_16x16x32_i8 v[156:159], a[186:187], a[138:139], v[156:159]// 00000000C428: D3D7009C 1E7315BA
	v_mfma_i32_16x16x32_i8 v[156:159], a[188:189], a[140:141], v[156:159]// 00000000C430: D3D7009C 1E7319BC
	v_mfma_i32_16x16x32_i8 v[156:159], a[190:191], a[142:143], v[156:159]// 00000000C438: D3D7009C 1E731DBE
	s_waitcnt vmcnt(22)                                        // 00000000C440: BF8C4F76
	s_barrier                                                  // 00000000C444: BF8A0000
	v_mfma_i32_16x16x32_i8 v[160:163], a[144:145], a[72:73], v[160:163]// 00000000C448: D3D700A0 1E829190
	buffer_load_dwordx4 a[176:179], v84, s[84:87], 0 offen     // 00000000C450: E05C1000 8095B054
	v_mfma_i32_16x16x32_i8 v[160:163], a[146:147], a[74:75], v[160:163]// 00000000C458: D3D700A0 1E829592
	v_mfma_i32_16x16x32_i8 v[160:163], a[148:149], a[76:77], v[160:163]// 00000000C460: D3D700A0 1E829994
	ds_read_b128 a[0:3], v2 offset:37120                       // 00000000C468: DBFE9100 00000002
	ds_read_b128 a[4:7], v2 offset:37184                       // 00000000C470: DBFE9140 04000002
	v_mfma_i32_16x16x32_i8 v[160:163], a[150:151], a[78:79], v[160:163]// 00000000C478: D3D700A0 1E829D96
	v_mfma_i32_16x16x32_i8 v[196:199], a[152:153], a[72:73], v[196:199]// 00000000C480: D3D700C4 1F129198
	buffer_load_dwordx4 a[180:183], v84, s[84:87], 0 offen offset:1024// 00000000C488: E05C1400 8095B454
	v_mfma_i32_16x16x32_i8 v[196:199], a[154:155], a[74:75], v[196:199]// 00000000C490: D3D700C4 1F12959A
	v_mfma_i32_16x16x32_i8 v[196:199], a[156:157], a[76:77], v[196:199]// 00000000C498: D3D700C4 1F12999C
	ds_read_b128 a[8:11], v2 offset:37632                      // 00000000C4A0: DBFE9300 08000002
	ds_read_b128 a[12:15], v2 offset:37696                     // 00000000C4A8: DBFE9340 0C000002
	v_mfma_i32_16x16x32_i8 v[196:199], a[158:159], a[78:79], v[196:199]// 00000000C4B0: D3D700C4 1F129D9E
	v_mfma_i32_16x16x32_i8 v[164:167], a[144:145], a[80:81], v[164:167]// 00000000C4B8: D3D700A4 1E92A190
	buffer_load_dwordx4 a[184:187], v85, s[84:87], 0 offen     // 00000000C4C0: E05C1000 8095B855
	v_mfma_i32_16x16x32_i8 v[164:167], a[146:147], a[82:83], v[164:167]// 00000000C4C8: D3D700A4 1E92A592
	v_mfma_i32_16x16x32_i8 v[164:167], a[148:149], a[84:85], v[164:167]// 00000000C4D0: D3D700A4 1E92A994
	ds_read_b128 a[16:19], v2 offset:38144                     // 00000000C4D8: DBFE9500 10000002
	ds_read_b128 a[20:23], v2 offset:38208                     // 00000000C4E0: DBFE9540 14000002
	v_mfma_i32_16x16x32_i8 v[164:167], a[150:151], a[86:87], v[164:167]// 00000000C4E8: D3D700A4 1E92AD96
	v_mfma_i32_16x16x32_i8 v[200:203], a[152:153], a[80:81], v[200:203]// 00000000C4F0: D3D700C8 1F22A198
	buffer_load_dwordx4 a[188:191], v85, s[84:87], 0 offen offset:1024// 00000000C4F8: E05C1400 8095BC55
	v_mfma_i32_16x16x32_i8 v[200:203], a[154:155], a[82:83], v[200:203]// 00000000C500: D3D700C8 1F22A59A
	v_mfma_i32_16x16x32_i8 v[200:203], a[156:157], a[84:85], v[200:203]// 00000000C508: D3D700C8 1F22A99C
	ds_read_b128 a[24:27], v2 offset:38656                     // 00000000C510: DBFE9700 18000002
	ds_read_b128 a[28:31], v2 offset:38720                     // 00000000C518: DBFE9740 1C000002
	v_mfma_i32_16x16x32_i8 v[200:203], a[158:159], a[86:87], v[200:203]// 00000000C520: D3D700C8 1F22AD9E
	v_mfma_i32_16x16x32_i8 v[168:171], a[144:145], a[88:89], v[168:171]// 00000000C528: D3D700A8 1EA2B190
	v_mfma_i32_16x16x32_i8 v[168:171], a[146:147], a[90:91], v[168:171]// 00000000C530: D3D700A8 1EA2B592
	v_mfma_i32_16x16x32_i8 v[168:171], a[148:149], a[92:93], v[168:171]// 00000000C538: D3D700A8 1EA2B994
	ds_read_b128 a[32:35], v2 offset:39168                     // 00000000C540: DBFE9900 20000002
	ds_read_b128 a[36:39], v2 offset:39232                     // 00000000C548: DBFE9940 24000002
	v_mfma_i32_16x16x32_i8 v[168:171], a[150:151], a[94:95], v[168:171]// 00000000C550: D3D700A8 1EA2BD96
	v_mfma_i32_16x16x32_i8 v[204:207], a[152:153], a[88:89], v[204:207]// 00000000C558: D3D700CC 1F32B198
	v_mfma_i32_16x16x32_i8 v[204:207], a[154:155], a[90:91], v[204:207]// 00000000C560: D3D700CC 1F32B59A
	v_mfma_i32_16x16x32_i8 v[204:207], a[156:157], a[92:93], v[204:207]// 00000000C568: D3D700CC 1F32B99C
	ds_read_b128 a[40:43], v2 offset:39680                     // 00000000C570: DBFE9B00 28000002
	ds_read_b128 a[44:47], v2 offset:39744                     // 00000000C578: DBFE9B40 2C000002
	v_mfma_i32_16x16x32_i8 v[204:207], a[158:159], a[94:95], v[204:207]// 00000000C580: D3D700CC 1F32BD9E
	v_mfma_i32_16x16x32_i8 v[172:175], a[144:145], a[96:97], v[172:175]// 00000000C588: D3D700AC 1EB2C190
	v_mfma_i32_16x16x32_i8 v[172:175], a[146:147], a[98:99], v[172:175]// 00000000C590: D3D700AC 1EB2C592
	v_mfma_i32_16x16x32_i8 v[172:175], a[148:149], a[100:101], v[172:175]// 00000000C598: D3D700AC 1EB2C994
	ds_read_b128 a[48:51], v2 offset:40192                     // 00000000C5A0: DBFE9D00 30000002
	ds_read_b128 a[52:55], v2 offset:40256                     // 00000000C5A8: DBFE9D40 34000002
	v_mfma_i32_16x16x32_i8 v[172:175], a[150:151], a[102:103], v[172:175]// 00000000C5B0: D3D700AC 1EB2CD96
	v_mfma_i32_16x16x32_i8 v[208:211], a[152:153], a[96:97], v[208:211]// 00000000C5B8: D3D700D0 1F42C198
	v_mfma_i32_16x16x32_i8 v[208:211], a[154:155], a[98:99], v[208:211]// 00000000C5C0: D3D700D0 1F42C59A
	v_mfma_i32_16x16x32_i8 v[208:211], a[156:157], a[100:101], v[208:211]// 00000000C5C8: D3D700D0 1F42C99C
	ds_read_b128 a[56:59], v2 offset:40704                     // 00000000C5D0: DBFE9F00 38000002
	ds_read_b128 a[60:63], v2 offset:40768                     // 00000000C5D8: DBFE9F40 3C000002
	v_mfma_i32_16x16x32_i8 v[208:211], a[158:159], a[102:103], v[208:211]// 00000000C5E0: D3D700D0 1F42CD9E
	v_mfma_i32_16x16x32_i8 v[176:179], a[144:145], a[104:105], v[176:179]// 00000000C5E8: D3D700B0 1EC2D190
	v_mfma_i32_16x16x32_i8 v[176:179], a[146:147], a[106:107], v[176:179]// 00000000C5F0: D3D700B0 1EC2D592
	v_mfma_i32_16x16x32_i8 v[176:179], a[148:149], a[108:109], v[176:179]// 00000000C5F8: D3D700B0 1EC2D994
	ds_read_b128 a[64:67], v2 offset:41216                     // 00000000C600: DBFEA100 40000002
	ds_read_b128 a[68:71], v2 offset:41280                     // 00000000C608: DBFEA140 44000002
	v_mfma_i32_16x16x32_i8 v[176:179], a[150:151], a[110:111], v[176:179]// 00000000C610: D3D700B0 1EC2DD96
	v_mfma_i32_16x16x32_i8 v[212:215], a[152:153], a[104:105], v[212:215]// 00000000C618: D3D700D4 1F52D198
	v_mfma_i32_16x16x32_i8 v[212:215], a[154:155], a[106:107], v[212:215]// 00000000C620: D3D700D4 1F52D59A
	v_mfma_i32_16x16x32_i8 v[212:215], a[156:157], a[108:109], v[212:215]// 00000000C628: D3D700D4 1F52D99C
	v_mfma_i32_16x16x32_i8 v[212:215], a[158:159], a[110:111], v[212:215]// 00000000C630: D3D700D4 1F52DD9E
	v_mfma_i32_16x16x32_i8 v[180:183], a[144:145], a[112:113], v[180:183]// 00000000C638: D3D700B4 1ED2E190
	v_mfma_i32_16x16x32_i8 v[180:183], a[146:147], a[114:115], v[180:183]// 00000000C640: D3D700B4 1ED2E592
	v_mfma_i32_16x16x32_i8 v[180:183], a[148:149], a[116:117], v[180:183]// 00000000C648: D3D700B4 1ED2E994
	v_mfma_i32_16x16x32_i8 v[180:183], a[150:151], a[118:119], v[180:183]// 00000000C650: D3D700B4 1ED2ED96
	v_mfma_i32_16x16x32_i8 v[216:219], a[152:153], a[112:113], v[216:219]// 00000000C658: D3D700D8 1F62E198
	v_mfma_i32_16x16x32_i8 v[216:219], a[154:155], a[114:115], v[216:219]// 00000000C660: D3D700D8 1F62E59A
	v_mfma_i32_16x16x32_i8 v[216:219], a[156:157], a[116:117], v[216:219]// 00000000C668: D3D700D8 1F62E99C
	v_mfma_i32_16x16x32_i8 v[216:219], a[158:159], a[118:119], v[216:219]// 00000000C670: D3D700D8 1F62ED9E
	v_mfma_i32_16x16x32_i8 v[184:187], a[144:145], a[120:121], v[184:187]// 00000000C678: D3D700B8 1EE2F190
	v_mfma_i32_16x16x32_i8 v[184:187], a[146:147], a[122:123], v[184:187]// 00000000C680: D3D700B8 1EE2F592
	v_mfma_i32_16x16x32_i8 v[184:187], a[148:149], a[124:125], v[184:187]// 00000000C688: D3D700B8 1EE2F994
	v_mfma_i32_16x16x32_i8 v[184:187], a[150:151], a[126:127], v[184:187]// 00000000C690: D3D700B8 1EE2FD96
	v_mfma_i32_16x16x32_i8 v[220:223], a[152:153], a[120:121], v[220:223]// 00000000C698: D3D700DC 1F72F198
	v_mfma_i32_16x16x32_i8 v[220:223], a[154:155], a[122:123], v[220:223]// 00000000C6A0: D3D700DC 1F72F59A
	v_mfma_i32_16x16x32_i8 v[220:223], a[156:157], a[124:125], v[220:223]// 00000000C6A8: D3D700DC 1F72F99C
	v_mfma_i32_16x16x32_i8 v[220:223], a[158:159], a[126:127], v[220:223]// 00000000C6B0: D3D700DC 1F72FD9E
	v_mfma_i32_16x16x32_i8 v[188:191], a[144:145], a[128:129], v[188:191]// 00000000C6B8: D3D700BC 1EF30190
	v_mfma_i32_16x16x32_i8 v[188:191], a[146:147], a[130:131], v[188:191]// 00000000C6C0: D3D700BC 1EF30592
	v_mfma_i32_16x16x32_i8 v[188:191], a[148:149], a[132:133], v[188:191]// 00000000C6C8: D3D700BC 1EF30994
	v_mfma_i32_16x16x32_i8 v[188:191], a[150:151], a[134:135], v[188:191]// 00000000C6D0: D3D700BC 1EF30D96
	v_mfma_i32_16x16x32_i8 v[224:227], a[152:153], a[128:129], v[224:227]// 00000000C6D8: D3D700E0 1F830198
	v_mfma_i32_16x16x32_i8 v[224:227], a[154:155], a[130:131], v[224:227]// 00000000C6E0: D3D700E0 1F83059A
	v_mfma_i32_16x16x32_i8 v[224:227], a[156:157], a[132:133], v[224:227]// 00000000C6E8: D3D700E0 1F83099C
	v_mfma_i32_16x16x32_i8 v[224:227], a[158:159], a[134:135], v[224:227]// 00000000C6F0: D3D700E0 1F830D9E
	v_mfma_i32_16x16x32_i8 v[192:195], a[144:145], a[136:137], v[192:195]// 00000000C6F8: D3D700C0 1F031190
	s_add_u32 s60, 0x180, s80                                  // 00000000C700: 803C50FF 00000180
	s_cmp_lt_u32 s60, s81                                      // 00000000C708: BF0A513C
	s_cselect_b32 s57, s57, 0                                  // 00000000C70C: 85398039
	v_mfma_i32_16x16x32_i8 v[192:195], a[146:147], a[138:139], v[192:195]// 00000000C710: D3D700C0 1F031592
	s_add_u32 s60, 0x100, s80                                  // 00000000C718: 803C50FF 00000100
	s_cmp_lt_u32 s60, s81                                      // 00000000C720: BF0A513C
	s_cselect_b32 s58, s58, 0                                  // 00000000C724: 853A803A
	v_mfma_i32_16x16x32_i8 v[192:195], a[148:149], a[140:141], v[192:195]// 00000000C728: D3D700C0 1F031994
	s_add_u32 s60, 0x100, s80                                  // 00000000C730: 803C50FF 00000100
	s_cmp_lt_u32 s60, s81                                      // 00000000C738: BF0A513C
	s_cselect_b32 s83, s83, 0                                  // 00000000C73C: 85538053
	v_mfma_i32_16x16x32_i8 v[192:195], a[150:151], a[142:143], v[192:195]// 00000000C740: D3D700C0 1F031D96
	s_add_u32 s24, s58, s24                                    // 00000000C748: 8018183A
	s_addc_u32 s25, 0, s25                                     // 00000000C74C: 82191980
	v_mfma_i32_16x16x32_i8 v[228:231], a[152:153], a[136:137], v[228:231]// 00000000C750: D3D700E4 1F931198
	s_add_u32 s20, s57, s20                                    // 00000000C758: 80141439
	s_addc_u32 s21, 0, s21                                     // 00000000C75C: 82151580
	v_mfma_i32_16x16x32_i8 v[228:231], a[154:155], a[138:139], v[228:231]// 00000000C760: D3D700E4 1F93159A
	s_add_u32 s84, s83, s84                                    // 00000000C768: 80545453
	s_addc_u32 s85, 0, s85                                     // 00000000C76C: 82555580
	v_mfma_i32_16x16x32_i8 v[228:231], a[156:157], a[140:141], v[228:231]// 00000000C770: D3D700E4 1F93199C
	v_mfma_i32_16x16x32_i8 v[228:231], a[158:159], a[142:143], v[228:231]// 00000000C778: D3D700E4 1F931D9E
	s_addk_i32 s80, 0x80                                       // 00000000C780: B7500080
	s_cmp_lt_i32 s80, s81                                      // 00000000C784: BF045150
	s_cbranch_scc0 label_2E33                                  // 00000000C788: BF8406CD
	s_waitcnt vmcnt(22) lgkmcnt(0)                             // 00000000C78C: BF8C4076
	v_mfma_i32_16x16x32_i8 v[88:91], a[160:161], a[0:1], v[88:91]// 00000000C790: D3D70058 1D6201A0
	buffer_load_dwordx4 a[144:147], v84, s[24:27], 0 offen     // 00000000C798: E05C1000 80869054
	v_mfma_i32_16x16x32_i8 v[88:91], a[162:163], a[2:3], v[88:91]// 00000000C7A0: D3D70058 1D6205A2
	v_mfma_i32_16x16x32_i8 v[88:91], a[164:165], a[4:5], v[88:91]// 00000000C7A8: D3D70058 1D6209A4
	v_mfma_i32_16x16x32_i8 v[88:91], a[166:167], a[6:7], v[88:91]// 00000000C7B0: D3D70058 1D620DA6
	v_mfma_i32_16x16x32_i8 v[124:127], a[168:169], a[0:1], v[124:127]// 00000000C7B8: D3D7007C 1DF201A8
	buffer_load_dwordx4 a[148:151], v84, s[24:27], 0 offen offset:1024// 00000000C7C0: E05C1400 80869454
	v_mfma_i32_16x16x32_i8 v[124:127], a[170:171], a[2:3], v[124:127]// 00000000C7C8: D3D7007C 1DF205AA
	v_mfma_i32_16x16x32_i8 v[124:127], a[172:173], a[4:5], v[124:127]// 00000000C7D0: D3D7007C 1DF209AC
	v_mfma_i32_16x16x32_i8 v[124:127], a[174:175], a[6:7], v[124:127]// 00000000C7D8: D3D7007C 1DF20DAE
	v_mfma_i32_16x16x32_i8 v[92:95], a[160:161], a[8:9], v[92:95]// 00000000C7E0: D3D7005C 1D7211A0
	buffer_load_dwordx4 a[152:155], v85, s[24:27], 0 offen     // 00000000C7E8: E05C1000 80869855
	v_mfma_i32_16x16x32_i8 v[92:95], a[162:163], a[10:11], v[92:95]// 00000000C7F0: D3D7005C 1D7215A2
	v_mfma_i32_16x16x32_i8 v[92:95], a[164:165], a[12:13], v[92:95]// 00000000C7F8: D3D7005C 1D7219A4
	v_mfma_i32_16x16x32_i8 v[92:95], a[166:167], a[14:15], v[92:95]// 00000000C800: D3D7005C 1D721DA6
	v_mfma_i32_16x16x32_i8 v[128:131], a[168:169], a[8:9], v[128:131]// 00000000C808: D3D70080 1E0211A8
	buffer_load_dwordx4 a[156:159], v85, s[24:27], 0 offen offset:1024// 00000000C810: E05C1400 80869C55
	buffer_load_dword v66, s[20:23], 0 offen lds               // 00000000C818: E0511000 80050042
	s_add_u32 m0, 0x100, s49                                   // 00000000C820: 807C31FF 00000100
	v_mfma_i32_16x16x32_i8 v[128:131], a[170:171], a[10:11], v[128:131]// 00000000C828: D3D70080 1E0215AA
	v_mfma_i32_16x16x32_i8 v[128:131], a[172:173], a[12:13], v[128:131]// 00000000C830: D3D70080 1E0219AC
	buffer_load_dword v67, s[20:23], 0 offen lds               // 00000000C838: E0511000 80050043
	s_add_u32 m0, 0x200, s49                                   // 00000000C840: 807C31FF 00000200
	v_mfma_i32_16x16x32_i8 v[128:131], a[174:175], a[14:15], v[128:131]// 00000000C848: D3D70080 1E021DAE
	v_mfma_i32_16x16x32_i8 v[96:99], a[160:161], a[16:17], v[96:99]// 00000000C850: D3D70060 1D8221A0
	buffer_load_dword v68, s[20:23], 0 offen lds               // 00000000C858: E0511000 80050044
	s_add_u32 m0, 0x300, s49                                   // 00000000C860: 807C31FF 00000300
	v_mfma_i32_16x16x32_i8 v[96:99], a[162:163], a[18:19], v[96:99]// 00000000C868: D3D70060 1D8225A2
	v_mfma_i32_16x16x32_i8 v[96:99], a[164:165], a[20:21], v[96:99]// 00000000C870: D3D70060 1D8229A4
	buffer_load_dword v69, s[20:23], 0 offen lds               // 00000000C878: E0511000 80050045
	s_add_u32 m0, 0x400, s49                                   // 00000000C880: 807C31FF 00000400
	v_mfma_i32_16x16x32_i8 v[96:99], a[166:167], a[22:23], v[96:99]// 00000000C888: D3D70060 1D822DA6
	v_mfma_i32_16x16x32_i8 v[132:135], a[168:169], a[16:17], v[132:135]// 00000000C890: D3D70084 1E1221A8
	buffer_load_dword v70, s[20:23], 0 offen lds               // 00000000C898: E0511000 80050046
	s_add_u32 m0, 0x500, s49                                   // 00000000C8A0: 807C31FF 00000500
	v_mfma_i32_16x16x32_i8 v[132:135], a[170:171], a[18:19], v[132:135]// 00000000C8A8: D3D70084 1E1225AA
	v_mfma_i32_16x16x32_i8 v[132:135], a[172:173], a[20:21], v[132:135]// 00000000C8B0: D3D70084 1E1229AC
	buffer_load_dword v71, s[20:23], 0 offen lds               // 00000000C8B8: E0511000 80050047
	s_add_u32 m0, 0x600, s49                                   // 00000000C8C0: 807C31FF 00000600
	v_mfma_i32_16x16x32_i8 v[132:135], a[174:175], a[22:23], v[132:135]// 00000000C8C8: D3D70084 1E122DAE
	v_mfma_i32_16x16x32_i8 v[100:103], a[160:161], a[24:25], v[100:103]// 00000000C8D0: D3D70064 1D9231A0
	buffer_load_dword v72, s[20:23], 0 offen lds               // 00000000C8D8: E0511000 80050048
	s_add_u32 m0, 0x700, s49                                   // 00000000C8E0: 807C31FF 00000700
	v_mfma_i32_16x16x32_i8 v[100:103], a[162:163], a[26:27], v[100:103]// 00000000C8E8: D3D70064 1D9235A2
	v_mfma_i32_16x16x32_i8 v[100:103], a[164:165], a[28:29], v[100:103]// 00000000C8F0: D3D70064 1D9239A4
	buffer_load_dword v73, s[20:23], 0 offen lds               // 00000000C8F8: E0511000 80050049
	s_add_u32 m0, 0x800, s49                                   // 00000000C900: 807C31FF 00000800
	v_mfma_i32_16x16x32_i8 v[100:103], a[166:167], a[30:31], v[100:103]// 00000000C908: D3D70064 1D923DA6
	v_mfma_i32_16x16x32_i8 v[136:139], a[168:169], a[24:25], v[136:139]// 00000000C910: D3D70088 1E2231A8
	buffer_load_dword v74, s[20:23], 0 offen lds               // 00000000C918: E0511000 8005004A
	s_add_u32 m0, 0x900, s49                                   // 00000000C920: 807C31FF 00000900
	v_mfma_i32_16x16x32_i8 v[136:139], a[170:171], a[26:27], v[136:139]// 00000000C928: D3D70088 1E2235AA
	v_mfma_i32_16x16x32_i8 v[136:139], a[172:173], a[28:29], v[136:139]// 00000000C930: D3D70088 1E2239AC
	buffer_load_dword v75, s[20:23], 0 offen lds               // 00000000C938: E0511000 8005004B
	s_add_u32 m0, 0xa00, s49                                   // 00000000C940: 807C31FF 00000A00
	v_mfma_i32_16x16x32_i8 v[136:139], a[174:175], a[30:31], v[136:139]// 00000000C948: D3D70088 1E223DAE
	v_mfma_i32_16x16x32_i8 v[104:107], a[160:161], a[32:33], v[104:107]// 00000000C950: D3D70068 1DA241A0
	buffer_load_dword v76, s[20:23], 0 offen lds               // 00000000C958: E0511000 8005004C
	s_add_u32 m0, 0xb00, s49                                   // 00000000C960: 807C31FF 00000B00
	v_mfma_i32_16x16x32_i8 v[104:107], a[162:163], a[34:35], v[104:107]// 00000000C968: D3D70068 1DA245A2
	v_mfma_i32_16x16x32_i8 v[104:107], a[164:165], a[36:37], v[104:107]// 00000000C970: D3D70068 1DA249A4
	buffer_load_dword v77, s[20:23], 0 offen lds               // 00000000C978: E0511000 8005004D
	s_add_u32 m0, 0xc00, s49                                   // 00000000C980: 807C31FF 00000C00
	v_mfma_i32_16x16x32_i8 v[104:107], a[166:167], a[38:39], v[104:107]// 00000000C988: D3D70068 1DA24DA6
	v_mfma_i32_16x16x32_i8 v[140:143], a[168:169], a[32:33], v[140:143]// 00000000C990: D3D7008C 1E3241A8
	buffer_load_dword v78, s[20:23], 0 offen lds               // 00000000C998: E0511000 8005004E
	s_add_u32 m0, 0xd00, s49                                   // 00000000C9A0: 807C31FF 00000D00
	v_mfma_i32_16x16x32_i8 v[140:143], a[170:171], a[34:35], v[140:143]// 00000000C9A8: D3D7008C 1E3245AA
	v_mfma_i32_16x16x32_i8 v[140:143], a[172:173], a[36:37], v[140:143]// 00000000C9B0: D3D7008C 1E3249AC
	buffer_load_dword v79, s[20:23], 0 offen lds               // 00000000C9B8: E0511000 8005004F
	s_add_u32 m0, 0xe00, s49                                   // 00000000C9C0: 807C31FF 00000E00
	v_mfma_i32_16x16x32_i8 v[140:143], a[174:175], a[38:39], v[140:143]// 00000000C9C8: D3D7008C 1E324DAE
	v_mfma_i32_16x16x32_i8 v[108:111], a[160:161], a[40:41], v[108:111]// 00000000C9D0: D3D7006C 1DB251A0
	buffer_load_dword v80, s[20:23], 0 offen lds               // 00000000C9D8: E0511000 80050050
	s_add_u32 m0, 0xf00, s49                                   // 00000000C9E0: 807C31FF 00000F00
	v_mfma_i32_16x16x32_i8 v[108:111], a[162:163], a[42:43], v[108:111]// 00000000C9E8: D3D7006C 1DB255A2
	v_mfma_i32_16x16x32_i8 v[108:111], a[164:165], a[44:45], v[108:111]// 00000000C9F0: D3D7006C 1DB259A4
	buffer_load_dword v81, s[20:23], 0 offen lds               // 00000000C9F8: E0511000 80050051
	s_add_u32 m0, 0x1000, s49                                  // 00000000CA00: 807C31FF 00001000
	v_mfma_i32_16x16x32_i8 v[108:111], a[166:167], a[46:47], v[108:111]// 00000000CA08: D3D7006C 1DB25DA6
	v_mfma_i32_16x16x32_i8 v[144:147], a[168:169], a[40:41], v[144:147]// 00000000CA10: D3D70090 1E4251A8
	buffer_load_dword v82, s[20:23], 0 offen lds               // 00000000CA18: E0511000 80050052
	s_add_u32 m0, 0x1100, s49                                  // 00000000CA20: 807C31FF 00001100
	v_mfma_i32_16x16x32_i8 v[144:147], a[170:171], a[42:43], v[144:147]// 00000000CA28: D3D70090 1E4255AA
	v_mfma_i32_16x16x32_i8 v[144:147], a[172:173], a[44:45], v[144:147]// 00000000CA30: D3D70090 1E4259AC
	buffer_load_dword v83, s[20:23], 0 offen lds               // 00000000CA38: E0511000 80050053
	s_add_u32 m0, 0, s50                                       // 00000000CA40: 807C3280
	v_mfma_i32_16x16x32_i8 v[144:147], a[174:175], a[46:47], v[144:147]// 00000000CA44: D3D70090 1E425DAE
	v_mfma_i32_16x16x32_i8 v[112:115], a[160:161], a[48:49], v[112:115]// 00000000CA4C: D3D70070 1DC261A0
	v_mfma_i32_16x16x32_i8 v[112:115], a[162:163], a[50:51], v[112:115]// 00000000CA54: D3D70070 1DC265A2
	v_mfma_i32_16x16x32_i8 v[112:115], a[164:165], a[52:53], v[112:115]// 00000000CA5C: D3D70070 1DC269A4
	v_mfma_i32_16x16x32_i8 v[112:115], a[166:167], a[54:55], v[112:115]// 00000000CA64: D3D70070 1DC26DA6
	v_mfma_i32_16x16x32_i8 v[148:151], a[168:169], a[48:49], v[148:151]// 00000000CA6C: D3D70094 1E5261A8
	v_mfma_i32_16x16x32_i8 v[148:151], a[170:171], a[50:51], v[148:151]// 00000000CA74: D3D70094 1E5265AA
	v_mfma_i32_16x16x32_i8 v[148:151], a[172:173], a[52:53], v[148:151]// 00000000CA7C: D3D70094 1E5269AC
	v_mfma_i32_16x16x32_i8 v[148:151], a[174:175], a[54:55], v[148:151]// 00000000CA84: D3D70094 1E526DAE
	v_mfma_i32_16x16x32_i8 v[116:119], a[160:161], a[56:57], v[116:119]// 00000000CA8C: D3D70074 1DD271A0
	v_mfma_i32_16x16x32_i8 v[116:119], a[162:163], a[58:59], v[116:119]// 00000000CA94: D3D70074 1DD275A2
	v_mfma_i32_16x16x32_i8 v[116:119], a[164:165], a[60:61], v[116:119]// 00000000CA9C: D3D70074 1DD279A4
	v_mfma_i32_16x16x32_i8 v[116:119], a[166:167], a[62:63], v[116:119]// 00000000CAA4: D3D70074 1DD27DA6
	v_mfma_i32_16x16x32_i8 v[152:155], a[168:169], a[56:57], v[152:155]// 00000000CAAC: D3D70098 1E6271A8
	v_mfma_i32_16x16x32_i8 v[152:155], a[170:171], a[58:59], v[152:155]// 00000000CAB4: D3D70098 1E6275AA
	v_mfma_i32_16x16x32_i8 v[152:155], a[172:173], a[60:61], v[152:155]// 00000000CABC: D3D70098 1E6279AC
	v_mfma_i32_16x16x32_i8 v[152:155], a[174:175], a[62:63], v[152:155]// 00000000CAC4: D3D70098 1E627DAE
	v_mfma_i32_16x16x32_i8 v[120:123], a[160:161], a[64:65], v[120:123]// 00000000CACC: D3D70078 1DE281A0
	v_mfma_i32_16x16x32_i8 v[120:123], a[162:163], a[66:67], v[120:123]// 00000000CAD4: D3D70078 1DE285A2
	v_mfma_i32_16x16x32_i8 v[120:123], a[164:165], a[68:69], v[120:123]// 00000000CADC: D3D70078 1DE289A4
	v_mfma_i32_16x16x32_i8 v[120:123], a[166:167], a[70:71], v[120:123]// 00000000CAE4: D3D70078 1DE28DA6
	v_mfma_i32_16x16x32_i8 v[156:159], a[168:169], a[64:65], v[156:159]// 00000000CAEC: D3D7009C 1E7281A8
	v_mfma_i32_16x16x32_i8 v[156:159], a[170:171], a[66:67], v[156:159]// 00000000CAF4: D3D7009C 1E7285AA
	v_mfma_i32_16x16x32_i8 v[156:159], a[172:173], a[68:69], v[156:159]// 00000000CAFC: D3D7009C 1E7289AC
	v_mfma_i32_16x16x32_i8 v[156:159], a[174:175], a[70:71], v[156:159]// 00000000CB04: D3D7009C 1E728DAE
	s_waitcnt vmcnt(22)                                        // 00000000CB0C: BF8C4F76
	s_barrier                                                  // 00000000CB10: BF8A0000
	v_mfma_i32_16x16x32_i8 v[160:163], a[176:177], a[0:1], v[160:163]// 00000000CB14: D3D700A0 1E8201B0
	buffer_load_dwordx4 a[160:163], v84, s[84:87], 0 offen     // 00000000CB1C: E05C1000 8095A054
	v_mfma_i32_16x16x32_i8 v[160:163], a[178:179], a[2:3], v[160:163]// 00000000CB24: D3D700A0 1E8205B2
	v_mfma_i32_16x16x32_i8 v[160:163], a[180:181], a[4:5], v[160:163]// 00000000CB2C: D3D700A0 1E8209B4
	ds_read_b128 a[72:75], v2                                  // 00000000CB34: DBFE0000 48000002
	ds_read_b128 a[76:79], v2 offset:64                        // 00000000CB3C: DBFE0040 4C000002
	v_mfma_i32_16x16x32_i8 v[160:163], a[182:183], a[6:7], v[160:163]// 00000000CB44: D3D700A0 1E820DB6
	v_mfma_i32_16x16x32_i8 v[196:199], a[184:185], a[0:1], v[196:199]// 00000000CB4C: D3D700C4 1F1201B8
	buffer_load_dwordx4 a[164:167], v84, s[84:87], 0 offen offset:1024// 00000000CB54: E05C1400 8095A454
	v_mfma_i32_16x16x32_i8 v[196:199], a[186:187], a[2:3], v[196:199]// 00000000CB5C: D3D700C4 1F1205BA
	v_mfma_i32_16x16x32_i8 v[196:199], a[188:189], a[4:5], v[196:199]// 00000000CB64: D3D700C4 1F1209BC
	ds_read_b128 a[80:83], v2 offset:512                       // 00000000CB6C: DBFE0200 50000002
	ds_read_b128 a[84:87], v2 offset:576                       // 00000000CB74: DBFE0240 54000002
	v_mfma_i32_16x16x32_i8 v[196:199], a[190:191], a[6:7], v[196:199]// 00000000CB7C: D3D700C4 1F120DBE
	v_mfma_i32_16x16x32_i8 v[164:167], a[176:177], a[8:9], v[164:167]// 00000000CB84: D3D700A4 1E9211B0
	buffer_load_dwordx4 a[168:171], v85, s[84:87], 0 offen     // 00000000CB8C: E05C1000 8095A855
	v_mfma_i32_16x16x32_i8 v[164:167], a[178:179], a[10:11], v[164:167]// 00000000CB94: D3D700A4 1E9215B2
	v_mfma_i32_16x16x32_i8 v[164:167], a[180:181], a[12:13], v[164:167]// 00000000CB9C: D3D700A4 1E9219B4
	ds_read_b128 a[88:91], v2 offset:1024                      // 00000000CBA4: DBFE0400 58000002
	ds_read_b128 a[92:95], v2 offset:1088                      // 00000000CBAC: DBFE0440 5C000002
	v_mfma_i32_16x16x32_i8 v[164:167], a[182:183], a[14:15], v[164:167]// 00000000CBB4: D3D700A4 1E921DB6
	v_mfma_i32_16x16x32_i8 v[200:203], a[184:185], a[8:9], v[200:203]// 00000000CBBC: D3D700C8 1F2211B8
	buffer_load_dwordx4 a[172:175], v85, s[84:87], 0 offen offset:1024// 00000000CBC4: E05C1400 8095AC55
	v_mfma_i32_16x16x32_i8 v[200:203], a[186:187], a[10:11], v[200:203]// 00000000CBCC: D3D700C8 1F2215BA
	v_mfma_i32_16x16x32_i8 v[200:203], a[188:189], a[12:13], v[200:203]// 00000000CBD4: D3D700C8 1F2219BC
	ds_read_b128 a[96:99], v2 offset:1536                      // 00000000CBDC: DBFE0600 60000002
	ds_read_b128 a[100:103], v2 offset:1600                    // 00000000CBE4: DBFE0640 64000002
	v_mfma_i32_16x16x32_i8 v[200:203], a[190:191], a[14:15], v[200:203]// 00000000CBEC: D3D700C8 1F221DBE
	v_mfma_i32_16x16x32_i8 v[168:171], a[176:177], a[16:17], v[168:171]// 00000000CBF4: D3D700A8 1EA221B0
	v_mfma_i32_16x16x32_i8 v[168:171], a[178:179], a[18:19], v[168:171]// 00000000CBFC: D3D700A8 1EA225B2
	v_mfma_i32_16x16x32_i8 v[168:171], a[180:181], a[20:21], v[168:171]// 00000000CC04: D3D700A8 1EA229B4
	ds_read_b128 a[104:107], v2 offset:2048                    // 00000000CC0C: DBFE0800 68000002
	ds_read_b128 a[108:111], v2 offset:2112                    // 00000000CC14: DBFE0840 6C000002
	v_mfma_i32_16x16x32_i8 v[168:171], a[182:183], a[22:23], v[168:171]// 00000000CC1C: D3D700A8 1EA22DB6
	v_mfma_i32_16x16x32_i8 v[204:207], a[184:185], a[16:17], v[204:207]// 00000000CC24: D3D700CC 1F3221B8
	v_mfma_i32_16x16x32_i8 v[204:207], a[186:187], a[18:19], v[204:207]// 00000000CC2C: D3D700CC 1F3225BA
	v_mfma_i32_16x16x32_i8 v[204:207], a[188:189], a[20:21], v[204:207]// 00000000CC34: D3D700CC 1F3229BC
	ds_read_b128 a[112:115], v2 offset:2560                    // 00000000CC3C: DBFE0A00 70000002
	ds_read_b128 a[116:119], v2 offset:2624                    // 00000000CC44: DBFE0A40 74000002
	v_mfma_i32_16x16x32_i8 v[204:207], a[190:191], a[22:23], v[204:207]// 00000000CC4C: D3D700CC 1F322DBE
	v_mfma_i32_16x16x32_i8 v[172:175], a[176:177], a[24:25], v[172:175]// 00000000CC54: D3D700AC 1EB231B0
	v_mfma_i32_16x16x32_i8 v[172:175], a[178:179], a[26:27], v[172:175]// 00000000CC5C: D3D700AC 1EB235B2
	v_mfma_i32_16x16x32_i8 v[172:175], a[180:181], a[28:29], v[172:175]// 00000000CC64: D3D700AC 1EB239B4
	ds_read_b128 a[120:123], v2 offset:3072                    // 00000000CC6C: DBFE0C00 78000002
	ds_read_b128 a[124:127], v2 offset:3136                    // 00000000CC74: DBFE0C40 7C000002
	v_mfma_i32_16x16x32_i8 v[172:175], a[182:183], a[30:31], v[172:175]// 00000000CC7C: D3D700AC 1EB23DB6
	v_mfma_i32_16x16x32_i8 v[208:211], a[184:185], a[24:25], v[208:211]// 00000000CC84: D3D700D0 1F4231B8
	v_mfma_i32_16x16x32_i8 v[208:211], a[186:187], a[26:27], v[208:211]// 00000000CC8C: D3D700D0 1F4235BA
	v_mfma_i32_16x16x32_i8 v[208:211], a[188:189], a[28:29], v[208:211]// 00000000CC94: D3D700D0 1F4239BC
	ds_read_b128 a[128:131], v2 offset:3584                    // 00000000CC9C: DBFE0E00 80000002
	ds_read_b128 a[132:135], v2 offset:3648                    // 00000000CCA4: DBFE0E40 84000002
	v_mfma_i32_16x16x32_i8 v[208:211], a[190:191], a[30:31], v[208:211]// 00000000CCAC: D3D700D0 1F423DBE
	v_mfma_i32_16x16x32_i8 v[176:179], a[176:177], a[32:33], v[176:179]// 00000000CCB4: D3D700B0 1EC241B0
	v_mfma_i32_16x16x32_i8 v[176:179], a[178:179], a[34:35], v[176:179]// 00000000CCBC: D3D700B0 1EC245B2
	v_mfma_i32_16x16x32_i8 v[176:179], a[180:181], a[36:37], v[176:179]// 00000000CCC4: D3D700B0 1EC249B4
	ds_read_b128 a[136:139], v2 offset:4096                    // 00000000CCCC: DBFE1000 88000002
	ds_read_b128 a[140:143], v2 offset:4160                    // 00000000CCD4: DBFE1040 8C000002
	v_mfma_i32_16x16x32_i8 v[176:179], a[182:183], a[38:39], v[176:179]// 00000000CCDC: D3D700B0 1EC24DB6
	v_mfma_i32_16x16x32_i8 v[212:215], a[184:185], a[32:33], v[212:215]// 00000000CCE4: D3D700D4 1F5241B8
	v_mfma_i32_16x16x32_i8 v[212:215], a[186:187], a[34:35], v[212:215]// 00000000CCEC: D3D700D4 1F5245BA
	v_mfma_i32_16x16x32_i8 v[212:215], a[188:189], a[36:37], v[212:215]// 00000000CCF4: D3D700D4 1F5249BC
	v_mfma_i32_16x16x32_i8 v[212:215], a[190:191], a[38:39], v[212:215]// 00000000CCFC: D3D700D4 1F524DBE
	v_mfma_i32_16x16x32_i8 v[180:183], a[176:177], a[40:41], v[180:183]// 00000000CD04: D3D700B4 1ED251B0
	v_mfma_i32_16x16x32_i8 v[180:183], a[178:179], a[42:43], v[180:183]// 00000000CD0C: D3D700B4 1ED255B2
	v_mfma_i32_16x16x32_i8 v[180:183], a[180:181], a[44:45], v[180:183]// 00000000CD14: D3D700B4 1ED259B4
	v_mfma_i32_16x16x32_i8 v[180:183], a[182:183], a[46:47], v[180:183]// 00000000CD1C: D3D700B4 1ED25DB6
	v_mfma_i32_16x16x32_i8 v[216:219], a[184:185], a[40:41], v[216:219]// 00000000CD24: D3D700D8 1F6251B8
	v_mfma_i32_16x16x32_i8 v[216:219], a[186:187], a[42:43], v[216:219]// 00000000CD2C: D3D700D8 1F6255BA
	v_mfma_i32_16x16x32_i8 v[216:219], a[188:189], a[44:45], v[216:219]// 00000000CD34: D3D700D8 1F6259BC
	v_mfma_i32_16x16x32_i8 v[216:219], a[190:191], a[46:47], v[216:219]// 00000000CD3C: D3D700D8 1F625DBE
	v_mfma_i32_16x16x32_i8 v[184:187], a[176:177], a[48:49], v[184:187]// 00000000CD44: D3D700B8 1EE261B0
	v_mfma_i32_16x16x32_i8 v[184:187], a[178:179], a[50:51], v[184:187]// 00000000CD4C: D3D700B8 1EE265B2
	v_mfma_i32_16x16x32_i8 v[184:187], a[180:181], a[52:53], v[184:187]// 00000000CD54: D3D700B8 1EE269B4
	v_mfma_i32_16x16x32_i8 v[184:187], a[182:183], a[54:55], v[184:187]// 00000000CD5C: D3D700B8 1EE26DB6
	v_mfma_i32_16x16x32_i8 v[220:223], a[184:185], a[48:49], v[220:223]// 00000000CD64: D3D700DC 1F7261B8
	v_mfma_i32_16x16x32_i8 v[220:223], a[186:187], a[50:51], v[220:223]// 00000000CD6C: D3D700DC 1F7265BA
	v_mfma_i32_16x16x32_i8 v[220:223], a[188:189], a[52:53], v[220:223]// 00000000CD74: D3D700DC 1F7269BC
	v_mfma_i32_16x16x32_i8 v[220:223], a[190:191], a[54:55], v[220:223]// 00000000CD7C: D3D700DC 1F726DBE
	v_mfma_i32_16x16x32_i8 v[188:191], a[176:177], a[56:57], v[188:191]// 00000000CD84: D3D700BC 1EF271B0
	v_mfma_i32_16x16x32_i8 v[188:191], a[178:179], a[58:59], v[188:191]// 00000000CD8C: D3D700BC 1EF275B2
	v_mfma_i32_16x16x32_i8 v[188:191], a[180:181], a[60:61], v[188:191]// 00000000CD94: D3D700BC 1EF279B4
	v_mfma_i32_16x16x32_i8 v[188:191], a[182:183], a[62:63], v[188:191]// 00000000CD9C: D3D700BC 1EF27DB6
	v_mfma_i32_16x16x32_i8 v[224:227], a[184:185], a[56:57], v[224:227]// 00000000CDA4: D3D700E0 1F8271B8
	v_mfma_i32_16x16x32_i8 v[224:227], a[186:187], a[58:59], v[224:227]// 00000000CDAC: D3D700E0 1F8275BA
	v_mfma_i32_16x16x32_i8 v[224:227], a[188:189], a[60:61], v[224:227]// 00000000CDB4: D3D700E0 1F8279BC
	v_mfma_i32_16x16x32_i8 v[224:227], a[190:191], a[62:63], v[224:227]// 00000000CDBC: D3D700E0 1F827DBE
	v_mfma_i32_16x16x32_i8 v[192:195], a[176:177], a[64:65], v[192:195]// 00000000CDC4: D3D700C0 1F0281B0
	s_add_u32 s60, 0x180, s80                                  // 00000000CDCC: 803C50FF 00000180
	s_cmp_lt_u32 s60, s81                                      // 00000000CDD4: BF0A513C
	s_cselect_b32 s57, s57, 0                                  // 00000000CDD8: 85398039
	v_mfma_i32_16x16x32_i8 v[192:195], a[178:179], a[66:67], v[192:195]// 00000000CDDC: D3D700C0 1F0285B2
	s_add_u32 s60, 0x100, s80                                  // 00000000CDE4: 803C50FF 00000100
	s_cmp_lt_u32 s60, s81                                      // 00000000CDEC: BF0A513C
	s_cselect_b32 s58, s58, 0                                  // 00000000CDF0: 853A803A
	v_mfma_i32_16x16x32_i8 v[192:195], a[180:181], a[68:69], v[192:195]// 00000000CDF4: D3D700C0 1F0289B4
	s_add_u32 s60, 0x100, s80                                  // 00000000CDFC: 803C50FF 00000100
	s_cmp_lt_u32 s60, s81                                      // 00000000CE04: BF0A513C
	s_cselect_b32 s83, s83, 0                                  // 00000000CE08: 85538053
	v_mfma_i32_16x16x32_i8 v[192:195], a[182:183], a[70:71], v[192:195]// 00000000CE0C: D3D700C0 1F028DB6
	s_add_u32 s24, s58, s24                                    // 00000000CE14: 8018183A
	s_addc_u32 s25, 0, s25                                     // 00000000CE18: 82191980
	v_mfma_i32_16x16x32_i8 v[228:231], a[184:185], a[64:65], v[228:231]// 00000000CE1C: D3D700E4 1F9281B8
	s_add_u32 s20, s57, s20                                    // 00000000CE24: 80141439
	s_addc_u32 s21, 0, s21                                     // 00000000CE28: 82151580
	v_mfma_i32_16x16x32_i8 v[228:231], a[186:187], a[66:67], v[228:231]// 00000000CE2C: D3D700E4 1F9285BA
	s_add_u32 s84, s83, s84                                    // 00000000CE34: 80545453
	s_addc_u32 s85, 0, s85                                     // 00000000CE38: 82555580
	v_mfma_i32_16x16x32_i8 v[228:231], a[188:189], a[68:69], v[228:231]// 00000000CE3C: D3D700E4 1F9289BC
	v_mfma_i32_16x16x32_i8 v[228:231], a[190:191], a[70:71], v[228:231]// 00000000CE44: D3D700E4 1F928DBE
	s_addk_i32 s80, 0x80                                       // 00000000CE4C: B7500080
	s_cmp_lt_i32 s80, s81                                      // 00000000CE50: BF045150
	s_cbranch_scc0 label_2E33                                  // 00000000CE54: BF84051A
	s_waitcnt vmcnt(22) lgkmcnt(0)                             // 00000000CE58: BF8C4076
	v_mfma_i32_16x16x32_i8 v[88:91], a[144:145], a[72:73], v[88:91]// 00000000CE5C: D3D70058 1D629190
	buffer_load_dwordx4 a[176:179], v84, s[24:27], 0 offen     // 00000000CE64: E05C1000 8086B054
	v_mfma_i32_16x16x32_i8 v[88:91], a[146:147], a[74:75], v[88:91]// 00000000CE6C: D3D70058 1D629592
	v_mfma_i32_16x16x32_i8 v[88:91], a[148:149], a[76:77], v[88:91]// 00000000CE74: D3D70058 1D629994
	v_mfma_i32_16x16x32_i8 v[88:91], a[150:151], a[78:79], v[88:91]// 00000000CE7C: D3D70058 1D629D96
	v_mfma_i32_16x16x32_i8 v[124:127], a[152:153], a[72:73], v[124:127]// 00000000CE84: D3D7007C 1DF29198
	buffer_load_dwordx4 a[180:183], v84, s[24:27], 0 offen offset:1024// 00000000CE8C: E05C1400 8086B454
	v_mfma_i32_16x16x32_i8 v[124:127], a[154:155], a[74:75], v[124:127]// 00000000CE94: D3D7007C 1DF2959A
	v_mfma_i32_16x16x32_i8 v[124:127], a[156:157], a[76:77], v[124:127]// 00000000CE9C: D3D7007C 1DF2999C
	v_mfma_i32_16x16x32_i8 v[124:127], a[158:159], a[78:79], v[124:127]// 00000000CEA4: D3D7007C 1DF29D9E
	v_mfma_i32_16x16x32_i8 v[92:95], a[144:145], a[80:81], v[92:95]// 00000000CEAC: D3D7005C 1D72A190
	buffer_load_dwordx4 a[184:187], v85, s[24:27], 0 offen     // 00000000CEB4: E05C1000 8086B855
	v_mfma_i32_16x16x32_i8 v[92:95], a[146:147], a[82:83], v[92:95]// 00000000CEBC: D3D7005C 1D72A592
	v_mfma_i32_16x16x32_i8 v[92:95], a[148:149], a[84:85], v[92:95]// 00000000CEC4: D3D7005C 1D72A994
	v_mfma_i32_16x16x32_i8 v[92:95], a[150:151], a[86:87], v[92:95]// 00000000CECC: D3D7005C 1D72AD96
	v_mfma_i32_16x16x32_i8 v[128:131], a[152:153], a[80:81], v[128:131]// 00000000CED4: D3D70080 1E02A198
	buffer_load_dwordx4 a[188:191], v85, s[24:27], 0 offen offset:1024// 00000000CEDC: E05C1400 8086BC55
	buffer_load_dword v66, s[20:23], 0 offen lds               // 00000000CEE4: E0511000 80050042
	s_add_u32 m0, 0x100, s50                                   // 00000000CEEC: 807C32FF 00000100
	v_mfma_i32_16x16x32_i8 v[128:131], a[154:155], a[82:83], v[128:131]// 00000000CEF4: D3D70080 1E02A59A
	v_mfma_i32_16x16x32_i8 v[128:131], a[156:157], a[84:85], v[128:131]// 00000000CEFC: D3D70080 1E02A99C
	buffer_load_dword v67, s[20:23], 0 offen lds               // 00000000CF04: E0511000 80050043
	s_add_u32 m0, 0x200, s50                                   // 00000000CF0C: 807C32FF 00000200
	v_mfma_i32_16x16x32_i8 v[128:131], a[158:159], a[86:87], v[128:131]// 00000000CF14: D3D70080 1E02AD9E
	v_mfma_i32_16x16x32_i8 v[96:99], a[144:145], a[88:89], v[96:99]// 00000000CF1C: D3D70060 1D82B190
	buffer_load_dword v68, s[20:23], 0 offen lds               // 00000000CF24: E0511000 80050044
	s_add_u32 m0, 0x300, s50                                   // 00000000CF2C: 807C32FF 00000300
	v_mfma_i32_16x16x32_i8 v[96:99], a[146:147], a[90:91], v[96:99]// 00000000CF34: D3D70060 1D82B592
	v_mfma_i32_16x16x32_i8 v[96:99], a[148:149], a[92:93], v[96:99]// 00000000CF3C: D3D70060 1D82B994
	buffer_load_dword v69, s[20:23], 0 offen lds               // 00000000CF44: E0511000 80050045
	s_add_u32 m0, 0x400, s50                                   // 00000000CF4C: 807C32FF 00000400
	v_mfma_i32_16x16x32_i8 v[96:99], a[150:151], a[94:95], v[96:99]// 00000000CF54: D3D70060 1D82BD96
	v_mfma_i32_16x16x32_i8 v[132:135], a[152:153], a[88:89], v[132:135]// 00000000CF5C: D3D70084 1E12B198
	buffer_load_dword v70, s[20:23], 0 offen lds               // 00000000CF64: E0511000 80050046
	s_add_u32 m0, 0x500, s50                                   // 00000000CF6C: 807C32FF 00000500
	v_mfma_i32_16x16x32_i8 v[132:135], a[154:155], a[90:91], v[132:135]// 00000000CF74: D3D70084 1E12B59A
	v_mfma_i32_16x16x32_i8 v[132:135], a[156:157], a[92:93], v[132:135]// 00000000CF7C: D3D70084 1E12B99C
	buffer_load_dword v71, s[20:23], 0 offen lds               // 00000000CF84: E0511000 80050047
	s_add_u32 m0, 0x600, s50                                   // 00000000CF8C: 807C32FF 00000600
	v_mfma_i32_16x16x32_i8 v[132:135], a[158:159], a[94:95], v[132:135]// 00000000CF94: D3D70084 1E12BD9E
	v_mfma_i32_16x16x32_i8 v[100:103], a[144:145], a[96:97], v[100:103]// 00000000CF9C: D3D70064 1D92C190
	buffer_load_dword v72, s[20:23], 0 offen lds               // 00000000CFA4: E0511000 80050048
	s_add_u32 m0, 0x700, s50                                   // 00000000CFAC: 807C32FF 00000700
	v_mfma_i32_16x16x32_i8 v[100:103], a[146:147], a[98:99], v[100:103]// 00000000CFB4: D3D70064 1D92C592
	v_mfma_i32_16x16x32_i8 v[100:103], a[148:149], a[100:101], v[100:103]// 00000000CFBC: D3D70064 1D92C994
	buffer_load_dword v73, s[20:23], 0 offen lds               // 00000000CFC4: E0511000 80050049
	s_add_u32 m0, 0x800, s50                                   // 00000000CFCC: 807C32FF 00000800
	v_mfma_i32_16x16x32_i8 v[100:103], a[150:151], a[102:103], v[100:103]// 00000000CFD4: D3D70064 1D92CD96
	v_mfma_i32_16x16x32_i8 v[136:139], a[152:153], a[96:97], v[136:139]// 00000000CFDC: D3D70088 1E22C198
	buffer_load_dword v74, s[20:23], 0 offen lds               // 00000000CFE4: E0511000 8005004A
	s_add_u32 m0, 0x900, s50                                   // 00000000CFEC: 807C32FF 00000900
	v_mfma_i32_16x16x32_i8 v[136:139], a[154:155], a[98:99], v[136:139]// 00000000CFF4: D3D70088 1E22C59A
	v_mfma_i32_16x16x32_i8 v[136:139], a[156:157], a[100:101], v[136:139]// 00000000CFFC: D3D70088 1E22C99C
	buffer_load_dword v75, s[20:23], 0 offen lds               // 00000000D004: E0511000 8005004B
	s_add_u32 m0, 0xa00, s50                                   // 00000000D00C: 807C32FF 00000A00
	v_mfma_i32_16x16x32_i8 v[136:139], a[158:159], a[102:103], v[136:139]// 00000000D014: D3D70088 1E22CD9E
	v_mfma_i32_16x16x32_i8 v[104:107], a[144:145], a[104:105], v[104:107]// 00000000D01C: D3D70068 1DA2D190
	buffer_load_dword v76, s[20:23], 0 offen lds               // 00000000D024: E0511000 8005004C
	s_add_u32 m0, 0xb00, s50                                   // 00000000D02C: 807C32FF 00000B00
	v_mfma_i32_16x16x32_i8 v[104:107], a[146:147], a[106:107], v[104:107]// 00000000D034: D3D70068 1DA2D592
	v_mfma_i32_16x16x32_i8 v[104:107], a[148:149], a[108:109], v[104:107]// 00000000D03C: D3D70068 1DA2D994
	buffer_load_dword v77, s[20:23], 0 offen lds               // 00000000D044: E0511000 8005004D
	s_add_u32 m0, 0xc00, s50                                   // 00000000D04C: 807C32FF 00000C00
	v_mfma_i32_16x16x32_i8 v[104:107], a[150:151], a[110:111], v[104:107]// 00000000D054: D3D70068 1DA2DD96
	v_mfma_i32_16x16x32_i8 v[140:143], a[152:153], a[104:105], v[140:143]// 00000000D05C: D3D7008C 1E32D198
	buffer_load_dword v78, s[20:23], 0 offen lds               // 00000000D064: E0511000 8005004E
	s_add_u32 m0, 0xd00, s50                                   // 00000000D06C: 807C32FF 00000D00
	v_mfma_i32_16x16x32_i8 v[140:143], a[154:155], a[106:107], v[140:143]// 00000000D074: D3D7008C 1E32D59A
	v_mfma_i32_16x16x32_i8 v[140:143], a[156:157], a[108:109], v[140:143]// 00000000D07C: D3D7008C 1E32D99C
	buffer_load_dword v79, s[20:23], 0 offen lds               // 00000000D084: E0511000 8005004F
	s_add_u32 m0, 0xe00, s50                                   // 00000000D08C: 807C32FF 00000E00
	v_mfma_i32_16x16x32_i8 v[140:143], a[158:159], a[110:111], v[140:143]// 00000000D094: D3D7008C 1E32DD9E
	v_mfma_i32_16x16x32_i8 v[108:111], a[144:145], a[112:113], v[108:111]// 00000000D09C: D3D7006C 1DB2E190
	buffer_load_dword v80, s[20:23], 0 offen lds               // 00000000D0A4: E0511000 80050050
	s_add_u32 m0, 0xf00, s50                                   // 00000000D0AC: 807C32FF 00000F00
	v_mfma_i32_16x16x32_i8 v[108:111], a[146:147], a[114:115], v[108:111]// 00000000D0B4: D3D7006C 1DB2E592
	v_mfma_i32_16x16x32_i8 v[108:111], a[148:149], a[116:117], v[108:111]// 00000000D0BC: D3D7006C 1DB2E994
	buffer_load_dword v81, s[20:23], 0 offen lds               // 00000000D0C4: E0511000 80050051
	s_add_u32 m0, 0x1000, s50                                  // 00000000D0CC: 807C32FF 00001000
	v_mfma_i32_16x16x32_i8 v[108:111], a[150:151], a[118:119], v[108:111]// 00000000D0D4: D3D7006C 1DB2ED96
	v_mfma_i32_16x16x32_i8 v[144:147], a[152:153], a[112:113], v[144:147]// 00000000D0DC: D3D70090 1E42E198
	buffer_load_dword v82, s[20:23], 0 offen lds               // 00000000D0E4: E0511000 80050052
	s_add_u32 m0, 0x1100, s50                                  // 00000000D0EC: 807C32FF 00001100
	v_mfma_i32_16x16x32_i8 v[144:147], a[154:155], a[114:115], v[144:147]// 00000000D0F4: D3D70090 1E42E59A
	v_mfma_i32_16x16x32_i8 v[144:147], a[156:157], a[116:117], v[144:147]// 00000000D0FC: D3D70090 1E42E99C
	buffer_load_dword v83, s[20:23], 0 offen lds               // 00000000D104: E0511000 80050053
	s_add_u32 m0, 0, s48                                       // 00000000D10C: 807C3080
	v_mfma_i32_16x16x32_i8 v[144:147], a[158:159], a[118:119], v[144:147]// 00000000D110: D3D70090 1E42ED9E
	v_mfma_i32_16x16x32_i8 v[112:115], a[144:145], a[120:121], v[112:115]// 00000000D118: D3D70070 1DC2F190
	v_mfma_i32_16x16x32_i8 v[112:115], a[146:147], a[122:123], v[112:115]// 00000000D120: D3D70070 1DC2F592
	v_mfma_i32_16x16x32_i8 v[112:115], a[148:149], a[124:125], v[112:115]// 00000000D128: D3D70070 1DC2F994
	v_mfma_i32_16x16x32_i8 v[112:115], a[150:151], a[126:127], v[112:115]// 00000000D130: D3D70070 1DC2FD96
	v_mfma_i32_16x16x32_i8 v[148:151], a[152:153], a[120:121], v[148:151]// 00000000D138: D3D70094 1E52F198
	v_mfma_i32_16x16x32_i8 v[148:151], a[154:155], a[122:123], v[148:151]// 00000000D140: D3D70094 1E52F59A
	v_mfma_i32_16x16x32_i8 v[148:151], a[156:157], a[124:125], v[148:151]// 00000000D148: D3D70094 1E52F99C
	v_mfma_i32_16x16x32_i8 v[148:151], a[158:159], a[126:127], v[148:151]// 00000000D150: D3D70094 1E52FD9E
	v_mfma_i32_16x16x32_i8 v[116:119], a[144:145], a[128:129], v[116:119]// 00000000D158: D3D70074 1DD30190
	v_mfma_i32_16x16x32_i8 v[116:119], a[146:147], a[130:131], v[116:119]// 00000000D160: D3D70074 1DD30592
	v_mfma_i32_16x16x32_i8 v[116:119], a[148:149], a[132:133], v[116:119]// 00000000D168: D3D70074 1DD30994
	v_mfma_i32_16x16x32_i8 v[116:119], a[150:151], a[134:135], v[116:119]// 00000000D170: D3D70074 1DD30D96
	v_mfma_i32_16x16x32_i8 v[152:155], a[152:153], a[128:129], v[152:155]// 00000000D178: D3D70098 1E630198
	v_mfma_i32_16x16x32_i8 v[152:155], a[154:155], a[130:131], v[152:155]// 00000000D180: D3D70098 1E63059A
	v_mfma_i32_16x16x32_i8 v[152:155], a[156:157], a[132:133], v[152:155]// 00000000D188: D3D70098 1E63099C
	v_mfma_i32_16x16x32_i8 v[152:155], a[158:159], a[134:135], v[152:155]// 00000000D190: D3D70098 1E630D9E
	v_mfma_i32_16x16x32_i8 v[120:123], a[144:145], a[136:137], v[120:123]// 00000000D198: D3D70078 1DE31190
	v_mfma_i32_16x16x32_i8 v[120:123], a[146:147], a[138:139], v[120:123]// 00000000D1A0: D3D70078 1DE31592
	v_mfma_i32_16x16x32_i8 v[120:123], a[148:149], a[140:141], v[120:123]// 00000000D1A8: D3D70078 1DE31994
	v_mfma_i32_16x16x32_i8 v[120:123], a[150:151], a[142:143], v[120:123]// 00000000D1B0: D3D70078 1DE31D96
	v_mfma_i32_16x16x32_i8 v[156:159], a[152:153], a[136:137], v[156:159]// 00000000D1B8: D3D7009C 1E731198
	v_mfma_i32_16x16x32_i8 v[156:159], a[154:155], a[138:139], v[156:159]// 00000000D1C0: D3D7009C 1E73159A
	v_mfma_i32_16x16x32_i8 v[156:159], a[156:157], a[140:141], v[156:159]// 00000000D1C8: D3D7009C 1E73199C
	v_mfma_i32_16x16x32_i8 v[156:159], a[158:159], a[142:143], v[156:159]// 00000000D1D0: D3D7009C 1E731D9E
	s_waitcnt vmcnt(22)                                        // 00000000D1D8: BF8C4F76
	s_barrier                                                  // 00000000D1DC: BF8A0000
	v_mfma_i32_16x16x32_i8 v[160:163], a[160:161], a[72:73], v[160:163]// 00000000D1E0: D3D700A0 1E8291A0
	buffer_load_dwordx4 a[144:147], v84, s[84:87], 0 offen     // 00000000D1E8: E05C1000 80959054
	v_mfma_i32_16x16x32_i8 v[160:163], a[162:163], a[74:75], v[160:163]// 00000000D1F0: D3D700A0 1E8295A2
	v_mfma_i32_16x16x32_i8 v[160:163], a[164:165], a[76:77], v[160:163]// 00000000D1F8: D3D700A0 1E8299A4
	ds_read_b128 a[0:3], v2 offset:18560                       // 00000000D200: DBFE4880 00000002
	ds_read_b128 a[4:7], v2 offset:18624                       // 00000000D208: DBFE48C0 04000002
	v_mfma_i32_16x16x32_i8 v[160:163], a[166:167], a[78:79], v[160:163]// 00000000D210: D3D700A0 1E829DA6
	v_mfma_i32_16x16x32_i8 v[196:199], a[168:169], a[72:73], v[196:199]// 00000000D218: D3D700C4 1F1291A8
	buffer_load_dwordx4 a[148:151], v84, s[84:87], 0 offen offset:1024// 00000000D220: E05C1400 80959454
	v_mfma_i32_16x16x32_i8 v[196:199], a[170:171], a[74:75], v[196:199]// 00000000D228: D3D700C4 1F1295AA
	v_mfma_i32_16x16x32_i8 v[196:199], a[172:173], a[76:77], v[196:199]// 00000000D230: D3D700C4 1F1299AC
	ds_read_b128 a[8:11], v2 offset:19072                      // 00000000D238: DBFE4A80 08000002
	ds_read_b128 a[12:15], v2 offset:19136                     // 00000000D240: DBFE4AC0 0C000002
	v_mfma_i32_16x16x32_i8 v[196:199], a[174:175], a[78:79], v[196:199]// 00000000D248: D3D700C4 1F129DAE
	v_mfma_i32_16x16x32_i8 v[164:167], a[160:161], a[80:81], v[164:167]// 00000000D250: D3D700A4 1E92A1A0
	buffer_load_dwordx4 a[152:155], v85, s[84:87], 0 offen     // 00000000D258: E05C1000 80959855
	v_mfma_i32_16x16x32_i8 v[164:167], a[162:163], a[82:83], v[164:167]// 00000000D260: D3D700A4 1E92A5A2
	v_mfma_i32_16x16x32_i8 v[164:167], a[164:165], a[84:85], v[164:167]// 00000000D268: D3D700A4 1E92A9A4
	ds_read_b128 a[16:19], v2 offset:19584                     // 00000000D270: DBFE4C80 10000002
	ds_read_b128 a[20:23], v2 offset:19648                     // 00000000D278: DBFE4CC0 14000002
	v_mfma_i32_16x16x32_i8 v[164:167], a[166:167], a[86:87], v[164:167]// 00000000D280: D3D700A4 1E92ADA6
	v_mfma_i32_16x16x32_i8 v[200:203], a[168:169], a[80:81], v[200:203]// 00000000D288: D3D700C8 1F22A1A8
	buffer_load_dwordx4 a[156:159], v85, s[84:87], 0 offen offset:1024// 00000000D290: E05C1400 80959C55
	v_mfma_i32_16x16x32_i8 v[200:203], a[170:171], a[82:83], v[200:203]// 00000000D298: D3D700C8 1F22A5AA
	v_mfma_i32_16x16x32_i8 v[200:203], a[172:173], a[84:85], v[200:203]// 00000000D2A0: D3D700C8 1F22A9AC
	ds_read_b128 a[24:27], v2 offset:20096                     // 00000000D2A8: DBFE4E80 18000002
	ds_read_b128 a[28:31], v2 offset:20160                     // 00000000D2B0: DBFE4EC0 1C000002
	v_mfma_i32_16x16x32_i8 v[200:203], a[174:175], a[86:87], v[200:203]// 00000000D2B8: D3D700C8 1F22ADAE
	v_mfma_i32_16x16x32_i8 v[168:171], a[160:161], a[88:89], v[168:171]// 00000000D2C0: D3D700A8 1EA2B1A0
	v_mfma_i32_16x16x32_i8 v[168:171], a[162:163], a[90:91], v[168:171]// 00000000D2C8: D3D700A8 1EA2B5A2
	v_mfma_i32_16x16x32_i8 v[168:171], a[164:165], a[92:93], v[168:171]// 00000000D2D0: D3D700A8 1EA2B9A4
	ds_read_b128 a[32:35], v2 offset:20608                     // 00000000D2D8: DBFE5080 20000002
	ds_read_b128 a[36:39], v2 offset:20672                     // 00000000D2E0: DBFE50C0 24000002
	v_mfma_i32_16x16x32_i8 v[168:171], a[166:167], a[94:95], v[168:171]// 00000000D2E8: D3D700A8 1EA2BDA6
	v_mfma_i32_16x16x32_i8 v[204:207], a[168:169], a[88:89], v[204:207]// 00000000D2F0: D3D700CC 1F32B1A8
	v_mfma_i32_16x16x32_i8 v[204:207], a[170:171], a[90:91], v[204:207]// 00000000D2F8: D3D700CC 1F32B5AA
	v_mfma_i32_16x16x32_i8 v[204:207], a[172:173], a[92:93], v[204:207]// 00000000D300: D3D700CC 1F32B9AC
	ds_read_b128 a[40:43], v2 offset:21120                     // 00000000D308: DBFE5280 28000002
	ds_read_b128 a[44:47], v2 offset:21184                     // 00000000D310: DBFE52C0 2C000002
	v_mfma_i32_16x16x32_i8 v[204:207], a[174:175], a[94:95], v[204:207]// 00000000D318: D3D700CC 1F32BDAE
	v_mfma_i32_16x16x32_i8 v[172:175], a[160:161], a[96:97], v[172:175]// 00000000D320: D3D700AC 1EB2C1A0
	v_mfma_i32_16x16x32_i8 v[172:175], a[162:163], a[98:99], v[172:175]// 00000000D328: D3D700AC 1EB2C5A2
	v_mfma_i32_16x16x32_i8 v[172:175], a[164:165], a[100:101], v[172:175]// 00000000D330: D3D700AC 1EB2C9A4
	ds_read_b128 a[48:51], v2 offset:21632                     // 00000000D338: DBFE5480 30000002
	ds_read_b128 a[52:55], v2 offset:21696                     // 00000000D340: DBFE54C0 34000002
	v_mfma_i32_16x16x32_i8 v[172:175], a[166:167], a[102:103], v[172:175]// 00000000D348: D3D700AC 1EB2CDA6
	v_mfma_i32_16x16x32_i8 v[208:211], a[168:169], a[96:97], v[208:211]// 00000000D350: D3D700D0 1F42C1A8
	v_mfma_i32_16x16x32_i8 v[208:211], a[170:171], a[98:99], v[208:211]// 00000000D358: D3D700D0 1F42C5AA
	v_mfma_i32_16x16x32_i8 v[208:211], a[172:173], a[100:101], v[208:211]// 00000000D360: D3D700D0 1F42C9AC
	ds_read_b128 a[56:59], v2 offset:22144                     // 00000000D368: DBFE5680 38000002
	ds_read_b128 a[60:63], v2 offset:22208                     // 00000000D370: DBFE56C0 3C000002
	v_mfma_i32_16x16x32_i8 v[208:211], a[174:175], a[102:103], v[208:211]// 00000000D378: D3D700D0 1F42CDAE
	v_mfma_i32_16x16x32_i8 v[176:179], a[160:161], a[104:105], v[176:179]// 00000000D380: D3D700B0 1EC2D1A0
	v_mfma_i32_16x16x32_i8 v[176:179], a[162:163], a[106:107], v[176:179]// 00000000D388: D3D700B0 1EC2D5A2
	v_mfma_i32_16x16x32_i8 v[176:179], a[164:165], a[108:109], v[176:179]// 00000000D390: D3D700B0 1EC2D9A4
	ds_read_b128 a[64:67], v2 offset:22656                     // 00000000D398: DBFE5880 40000002
	ds_read_b128 a[68:71], v2 offset:22720                     // 00000000D3A0: DBFE58C0 44000002
	v_mfma_i32_16x16x32_i8 v[176:179], a[166:167], a[110:111], v[176:179]// 00000000D3A8: D3D700B0 1EC2DDA6
	v_mfma_i32_16x16x32_i8 v[212:215], a[168:169], a[104:105], v[212:215]// 00000000D3B0: D3D700D4 1F52D1A8
	v_mfma_i32_16x16x32_i8 v[212:215], a[170:171], a[106:107], v[212:215]// 00000000D3B8: D3D700D4 1F52D5AA
	v_mfma_i32_16x16x32_i8 v[212:215], a[172:173], a[108:109], v[212:215]// 00000000D3C0: D3D700D4 1F52D9AC
	v_mfma_i32_16x16x32_i8 v[212:215], a[174:175], a[110:111], v[212:215]// 00000000D3C8: D3D700D4 1F52DDAE
	v_mfma_i32_16x16x32_i8 v[180:183], a[160:161], a[112:113], v[180:183]// 00000000D3D0: D3D700B4 1ED2E1A0
	v_mfma_i32_16x16x32_i8 v[180:183], a[162:163], a[114:115], v[180:183]// 00000000D3D8: D3D700B4 1ED2E5A2
	v_mfma_i32_16x16x32_i8 v[180:183], a[164:165], a[116:117], v[180:183]// 00000000D3E0: D3D700B4 1ED2E9A4
	v_mfma_i32_16x16x32_i8 v[180:183], a[166:167], a[118:119], v[180:183]// 00000000D3E8: D3D700B4 1ED2EDA6
	v_mfma_i32_16x16x32_i8 v[216:219], a[168:169], a[112:113], v[216:219]// 00000000D3F0: D3D700D8 1F62E1A8
	v_mfma_i32_16x16x32_i8 v[216:219], a[170:171], a[114:115], v[216:219]// 00000000D3F8: D3D700D8 1F62E5AA
	v_mfma_i32_16x16x32_i8 v[216:219], a[172:173], a[116:117], v[216:219]// 00000000D400: D3D700D8 1F62E9AC
	v_mfma_i32_16x16x32_i8 v[216:219], a[174:175], a[118:119], v[216:219]// 00000000D408: D3D700D8 1F62EDAE
	v_mfma_i32_16x16x32_i8 v[184:187], a[160:161], a[120:121], v[184:187]// 00000000D410: D3D700B8 1EE2F1A0
	v_mfma_i32_16x16x32_i8 v[184:187], a[162:163], a[122:123], v[184:187]// 00000000D418: D3D700B8 1EE2F5A2
	v_mfma_i32_16x16x32_i8 v[184:187], a[164:165], a[124:125], v[184:187]// 00000000D420: D3D700B8 1EE2F9A4
	v_mfma_i32_16x16x32_i8 v[184:187], a[166:167], a[126:127], v[184:187]// 00000000D428: D3D700B8 1EE2FDA6
	v_mfma_i32_16x16x32_i8 v[220:223], a[168:169], a[120:121], v[220:223]// 00000000D430: D3D700DC 1F72F1A8
	v_mfma_i32_16x16x32_i8 v[220:223], a[170:171], a[122:123], v[220:223]// 00000000D438: D3D700DC 1F72F5AA
	v_mfma_i32_16x16x32_i8 v[220:223], a[172:173], a[124:125], v[220:223]// 00000000D440: D3D700DC 1F72F9AC
	v_mfma_i32_16x16x32_i8 v[220:223], a[174:175], a[126:127], v[220:223]// 00000000D448: D3D700DC 1F72FDAE
	v_mfma_i32_16x16x32_i8 v[188:191], a[160:161], a[128:129], v[188:191]// 00000000D450: D3D700BC 1EF301A0
	v_mfma_i32_16x16x32_i8 v[188:191], a[162:163], a[130:131], v[188:191]// 00000000D458: D3D700BC 1EF305A2
	v_mfma_i32_16x16x32_i8 v[188:191], a[164:165], a[132:133], v[188:191]// 00000000D460: D3D700BC 1EF309A4
	v_mfma_i32_16x16x32_i8 v[188:191], a[166:167], a[134:135], v[188:191]// 00000000D468: D3D700BC 1EF30DA6
	v_mfma_i32_16x16x32_i8 v[224:227], a[168:169], a[128:129], v[224:227]// 00000000D470: D3D700E0 1F8301A8
	v_mfma_i32_16x16x32_i8 v[224:227], a[170:171], a[130:131], v[224:227]// 00000000D478: D3D700E0 1F8305AA
	v_mfma_i32_16x16x32_i8 v[224:227], a[172:173], a[132:133], v[224:227]// 00000000D480: D3D700E0 1F8309AC
	v_mfma_i32_16x16x32_i8 v[224:227], a[174:175], a[134:135], v[224:227]// 00000000D488: D3D700E0 1F830DAE
	v_mfma_i32_16x16x32_i8 v[192:195], a[160:161], a[136:137], v[192:195]// 00000000D490: D3D700C0 1F0311A0
	s_add_u32 s60, 0x180, s80                                  // 00000000D498: 803C50FF 00000180
	s_cmp_lt_u32 s60, s81                                      // 00000000D4A0: BF0A513C
	s_cselect_b32 s57, s57, 0                                  // 00000000D4A4: 85398039
	v_mfma_i32_16x16x32_i8 v[192:195], a[162:163], a[138:139], v[192:195]// 00000000D4A8: D3D700C0 1F0315A2
	s_add_u32 s60, 0x100, s80                                  // 00000000D4B0: 803C50FF 00000100
	s_cmp_lt_u32 s60, s81                                      // 00000000D4B8: BF0A513C
	s_cselect_b32 s58, s58, 0                                  // 00000000D4BC: 853A803A
	v_mfma_i32_16x16x32_i8 v[192:195], a[164:165], a[140:141], v[192:195]// 00000000D4C0: D3D700C0 1F0319A4
	s_add_u32 s60, 0x100, s80                                  // 00000000D4C8: 803C50FF 00000100
	s_cmp_lt_u32 s60, s81                                      // 00000000D4D0: BF0A513C
	s_cselect_b32 s83, s83, 0                                  // 00000000D4D4: 85538053
	v_mfma_i32_16x16x32_i8 v[192:195], a[166:167], a[142:143], v[192:195]// 00000000D4D8: D3D700C0 1F031DA6
	s_add_u32 s24, s58, s24                                    // 00000000D4E0: 8018183A
	s_addc_u32 s25, 0, s25                                     // 00000000D4E4: 82191980
	v_mfma_i32_16x16x32_i8 v[228:231], a[168:169], a[136:137], v[228:231]// 00000000D4E8: D3D700E4 1F9311A8
	s_add_u32 s20, s57, s20                                    // 00000000D4F0: 80141439
	s_addc_u32 s21, 0, s21                                     // 00000000D4F4: 82151580
	v_mfma_i32_16x16x32_i8 v[228:231], a[170:171], a[138:139], v[228:231]// 00000000D4F8: D3D700E4 1F9315AA
	s_add_u32 s84, s83, s84                                    // 00000000D500: 80545453
	s_addc_u32 s85, 0, s85                                     // 00000000D504: 82555580
	v_mfma_i32_16x16x32_i8 v[228:231], a[172:173], a[140:141], v[228:231]// 00000000D508: D3D700E4 1F9319AC
	v_mfma_i32_16x16x32_i8 v[228:231], a[174:175], a[142:143], v[228:231]// 00000000D510: D3D700E4 1F931DAE
	s_addk_i32 s80, 0x80                                       // 00000000D518: B7500080
	s_cmp_lt_i32 s80, s81                                      // 00000000D51C: BF045150
	s_cbranch_scc0 label_2E33                                  // 00000000D520: BF840367
	s_waitcnt vmcnt(22) lgkmcnt(0)                             // 00000000D524: BF8C4076
	v_mfma_i32_16x16x32_i8 v[88:91], a[176:177], a[0:1], v[88:91]// 00000000D528: D3D70058 1D6201B0
	buffer_load_dwordx4 a[160:163], v84, s[24:27], 0 offen     // 00000000D530: E05C1000 8086A054
	v_mfma_i32_16x16x32_i8 v[88:91], a[178:179], a[2:3], v[88:91]// 00000000D538: D3D70058 1D6205B2
	v_mfma_i32_16x16x32_i8 v[88:91], a[180:181], a[4:5], v[88:91]// 00000000D540: D3D70058 1D6209B4
	v_mfma_i32_16x16x32_i8 v[88:91], a[182:183], a[6:7], v[88:91]// 00000000D548: D3D70058 1D620DB6
	v_mfma_i32_16x16x32_i8 v[124:127], a[184:185], a[0:1], v[124:127]// 00000000D550: D3D7007C 1DF201B8
	buffer_load_dwordx4 a[164:167], v84, s[24:27], 0 offen offset:1024// 00000000D558: E05C1400 8086A454
	v_mfma_i32_16x16x32_i8 v[124:127], a[186:187], a[2:3], v[124:127]// 00000000D560: D3D7007C 1DF205BA
	v_mfma_i32_16x16x32_i8 v[124:127], a[188:189], a[4:5], v[124:127]// 00000000D568: D3D7007C 1DF209BC
	v_mfma_i32_16x16x32_i8 v[124:127], a[190:191], a[6:7], v[124:127]// 00000000D570: D3D7007C 1DF20DBE
	v_mfma_i32_16x16x32_i8 v[92:95], a[176:177], a[8:9], v[92:95]// 00000000D578: D3D7005C 1D7211B0
	buffer_load_dwordx4 a[168:171], v85, s[24:27], 0 offen     // 00000000D580: E05C1000 8086A855
	v_mfma_i32_16x16x32_i8 v[92:95], a[178:179], a[10:11], v[92:95]// 00000000D588: D3D7005C 1D7215B2
	v_mfma_i32_16x16x32_i8 v[92:95], a[180:181], a[12:13], v[92:95]// 00000000D590: D3D7005C 1D7219B4
	v_mfma_i32_16x16x32_i8 v[92:95], a[182:183], a[14:15], v[92:95]// 00000000D598: D3D7005C 1D721DB6
	v_mfma_i32_16x16x32_i8 v[128:131], a[184:185], a[8:9], v[128:131]// 00000000D5A0: D3D70080 1E0211B8
	buffer_load_dwordx4 a[172:175], v85, s[24:27], 0 offen offset:1024// 00000000D5A8: E05C1400 8086AC55
	buffer_load_dword v66, s[20:23], 0 offen lds               // 00000000D5B0: E0511000 80050042
	s_add_u32 m0, 0x100, s48                                   // 00000000D5B8: 807C30FF 00000100
	v_mfma_i32_16x16x32_i8 v[128:131], a[186:187], a[10:11], v[128:131]// 00000000D5C0: D3D70080 1E0215BA
	v_mfma_i32_16x16x32_i8 v[128:131], a[188:189], a[12:13], v[128:131]// 00000000D5C8: D3D70080 1E0219BC
	buffer_load_dword v67, s[20:23], 0 offen lds               // 00000000D5D0: E0511000 80050043
	s_add_u32 m0, 0x200, s48                                   // 00000000D5D8: 807C30FF 00000200
	v_mfma_i32_16x16x32_i8 v[128:131], a[190:191], a[14:15], v[128:131]// 00000000D5E0: D3D70080 1E021DBE
	v_mfma_i32_16x16x32_i8 v[96:99], a[176:177], a[16:17], v[96:99]// 00000000D5E8: D3D70060 1D8221B0
	buffer_load_dword v68, s[20:23], 0 offen lds               // 00000000D5F0: E0511000 80050044
	s_add_u32 m0, 0x300, s48                                   // 00000000D5F8: 807C30FF 00000300
	v_mfma_i32_16x16x32_i8 v[96:99], a[178:179], a[18:19], v[96:99]// 00000000D600: D3D70060 1D8225B2
	v_mfma_i32_16x16x32_i8 v[96:99], a[180:181], a[20:21], v[96:99]// 00000000D608: D3D70060 1D8229B4
	buffer_load_dword v69, s[20:23], 0 offen lds               // 00000000D610: E0511000 80050045
	s_add_u32 m0, 0x400, s48                                   // 00000000D618: 807C30FF 00000400
	v_mfma_i32_16x16x32_i8 v[96:99], a[182:183], a[22:23], v[96:99]// 00000000D620: D3D70060 1D822DB6
	v_mfma_i32_16x16x32_i8 v[132:135], a[184:185], a[16:17], v[132:135]// 00000000D628: D3D70084 1E1221B8
	buffer_load_dword v70, s[20:23], 0 offen lds               // 00000000D630: E0511000 80050046
	s_add_u32 m0, 0x500, s48                                   // 00000000D638: 807C30FF 00000500
	v_mfma_i32_16x16x32_i8 v[132:135], a[186:187], a[18:19], v[132:135]// 00000000D640: D3D70084 1E1225BA
	v_mfma_i32_16x16x32_i8 v[132:135], a[188:189], a[20:21], v[132:135]// 00000000D648: D3D70084 1E1229BC
	buffer_load_dword v71, s[20:23], 0 offen lds               // 00000000D650: E0511000 80050047
	s_add_u32 m0, 0x600, s48                                   // 00000000D658: 807C30FF 00000600
	v_mfma_i32_16x16x32_i8 v[132:135], a[190:191], a[22:23], v[132:135]// 00000000D660: D3D70084 1E122DBE
	v_mfma_i32_16x16x32_i8 v[100:103], a[176:177], a[24:25], v[100:103]// 00000000D668: D3D70064 1D9231B0
	buffer_load_dword v72, s[20:23], 0 offen lds               // 00000000D670: E0511000 80050048
	s_add_u32 m0, 0x700, s48                                   // 00000000D678: 807C30FF 00000700
	v_mfma_i32_16x16x32_i8 v[100:103], a[178:179], a[26:27], v[100:103]// 00000000D680: D3D70064 1D9235B2
	v_mfma_i32_16x16x32_i8 v[100:103], a[180:181], a[28:29], v[100:103]// 00000000D688: D3D70064 1D9239B4
	buffer_load_dword v73, s[20:23], 0 offen lds               // 00000000D690: E0511000 80050049
	s_add_u32 m0, 0x800, s48                                   // 00000000D698: 807C30FF 00000800
	v_mfma_i32_16x16x32_i8 v[100:103], a[182:183], a[30:31], v[100:103]// 00000000D6A0: D3D70064 1D923DB6
	v_mfma_i32_16x16x32_i8 v[136:139], a[184:185], a[24:25], v[136:139]// 00000000D6A8: D3D70088 1E2231B8
	buffer_load_dword v74, s[20:23], 0 offen lds               // 00000000D6B0: E0511000 8005004A
	s_add_u32 m0, 0x900, s48                                   // 00000000D6B8: 807C30FF 00000900
	v_mfma_i32_16x16x32_i8 v[136:139], a[186:187], a[26:27], v[136:139]// 00000000D6C0: D3D70088 1E2235BA
	v_mfma_i32_16x16x32_i8 v[136:139], a[188:189], a[28:29], v[136:139]// 00000000D6C8: D3D70088 1E2239BC
	buffer_load_dword v75, s[20:23], 0 offen lds               // 00000000D6D0: E0511000 8005004B
	s_add_u32 m0, 0xa00, s48                                   // 00000000D6D8: 807C30FF 00000A00
	v_mfma_i32_16x16x32_i8 v[136:139], a[190:191], a[30:31], v[136:139]// 00000000D6E0: D3D70088 1E223DBE
	v_mfma_i32_16x16x32_i8 v[104:107], a[176:177], a[32:33], v[104:107]// 00000000D6E8: D3D70068 1DA241B0
	buffer_load_dword v76, s[20:23], 0 offen lds               // 00000000D6F0: E0511000 8005004C
	s_add_u32 m0, 0xb00, s48                                   // 00000000D6F8: 807C30FF 00000B00
	v_mfma_i32_16x16x32_i8 v[104:107], a[178:179], a[34:35], v[104:107]// 00000000D700: D3D70068 1DA245B2
	v_mfma_i32_16x16x32_i8 v[104:107], a[180:181], a[36:37], v[104:107]// 00000000D708: D3D70068 1DA249B4
	buffer_load_dword v77, s[20:23], 0 offen lds               // 00000000D710: E0511000 8005004D
	s_add_u32 m0, 0xc00, s48                                   // 00000000D718: 807C30FF 00000C00
	v_mfma_i32_16x16x32_i8 v[104:107], a[182:183], a[38:39], v[104:107]// 00000000D720: D3D70068 1DA24DB6
	v_mfma_i32_16x16x32_i8 v[140:143], a[184:185], a[32:33], v[140:143]// 00000000D728: D3D7008C 1E3241B8
	buffer_load_dword v78, s[20:23], 0 offen lds               // 00000000D730: E0511000 8005004E
	s_add_u32 m0, 0xd00, s48                                   // 00000000D738: 807C30FF 00000D00
	v_mfma_i32_16x16x32_i8 v[140:143], a[186:187], a[34:35], v[140:143]// 00000000D740: D3D7008C 1E3245BA
	v_mfma_i32_16x16x32_i8 v[140:143], a[188:189], a[36:37], v[140:143]// 00000000D748: D3D7008C 1E3249BC
	buffer_load_dword v79, s[20:23], 0 offen lds               // 00000000D750: E0511000 8005004F
	s_add_u32 m0, 0xe00, s48                                   // 00000000D758: 807C30FF 00000E00
	v_mfma_i32_16x16x32_i8 v[140:143], a[190:191], a[38:39], v[140:143]// 00000000D760: D3D7008C 1E324DBE
	v_mfma_i32_16x16x32_i8 v[108:111], a[176:177], a[40:41], v[108:111]// 00000000D768: D3D7006C 1DB251B0
	buffer_load_dword v80, s[20:23], 0 offen lds               // 00000000D770: E0511000 80050050
	s_add_u32 m0, 0xf00, s48                                   // 00000000D778: 807C30FF 00000F00
	v_mfma_i32_16x16x32_i8 v[108:111], a[178:179], a[42:43], v[108:111]// 00000000D780: D3D7006C 1DB255B2
	v_mfma_i32_16x16x32_i8 v[108:111], a[180:181], a[44:45], v[108:111]// 00000000D788: D3D7006C 1DB259B4
	buffer_load_dword v81, s[20:23], 0 offen lds               // 00000000D790: E0511000 80050051
	s_add_u32 m0, 0x1000, s48                                  // 00000000D798: 807C30FF 00001000
	v_mfma_i32_16x16x32_i8 v[108:111], a[182:183], a[46:47], v[108:111]// 00000000D7A0: D3D7006C 1DB25DB6
	v_mfma_i32_16x16x32_i8 v[144:147], a[184:185], a[40:41], v[144:147]// 00000000D7A8: D3D70090 1E4251B8
	buffer_load_dword v82, s[20:23], 0 offen lds               // 00000000D7B0: E0511000 80050052
	s_add_u32 m0, 0x1100, s48                                  // 00000000D7B8: 807C30FF 00001100
	v_mfma_i32_16x16x32_i8 v[144:147], a[186:187], a[42:43], v[144:147]// 00000000D7C0: D3D70090 1E4255BA
	v_mfma_i32_16x16x32_i8 v[144:147], a[188:189], a[44:45], v[144:147]// 00000000D7C8: D3D70090 1E4259BC
	buffer_load_dword v83, s[20:23], 0 offen lds               // 00000000D7D0: E0511000 80050053
	s_add_u32 m0, 0, s49                                       // 00000000D7D8: 807C3180
	v_mfma_i32_16x16x32_i8 v[144:147], a[190:191], a[46:47], v[144:147]// 00000000D7DC: D3D70090 1E425DBE
	v_mfma_i32_16x16x32_i8 v[112:115], a[176:177], a[48:49], v[112:115]// 00000000D7E4: D3D70070 1DC261B0
	v_mfma_i32_16x16x32_i8 v[112:115], a[178:179], a[50:51], v[112:115]// 00000000D7EC: D3D70070 1DC265B2
	v_mfma_i32_16x16x32_i8 v[112:115], a[180:181], a[52:53], v[112:115]// 00000000D7F4: D3D70070 1DC269B4
	v_mfma_i32_16x16x32_i8 v[112:115], a[182:183], a[54:55], v[112:115]// 00000000D7FC: D3D70070 1DC26DB6
	v_mfma_i32_16x16x32_i8 v[148:151], a[184:185], a[48:49], v[148:151]// 00000000D804: D3D70094 1E5261B8
	v_mfma_i32_16x16x32_i8 v[148:151], a[186:187], a[50:51], v[148:151]// 00000000D80C: D3D70094 1E5265BA
	v_mfma_i32_16x16x32_i8 v[148:151], a[188:189], a[52:53], v[148:151]// 00000000D814: D3D70094 1E5269BC
	v_mfma_i32_16x16x32_i8 v[148:151], a[190:191], a[54:55], v[148:151]// 00000000D81C: D3D70094 1E526DBE
	v_mfma_i32_16x16x32_i8 v[116:119], a[176:177], a[56:57], v[116:119]// 00000000D824: D3D70074 1DD271B0
	v_mfma_i32_16x16x32_i8 v[116:119], a[178:179], a[58:59], v[116:119]// 00000000D82C: D3D70074 1DD275B2
	v_mfma_i32_16x16x32_i8 v[116:119], a[180:181], a[60:61], v[116:119]// 00000000D834: D3D70074 1DD279B4
	v_mfma_i32_16x16x32_i8 v[116:119], a[182:183], a[62:63], v[116:119]// 00000000D83C: D3D70074 1DD27DB6
	v_mfma_i32_16x16x32_i8 v[152:155], a[184:185], a[56:57], v[152:155]// 00000000D844: D3D70098 1E6271B8
	v_mfma_i32_16x16x32_i8 v[152:155], a[186:187], a[58:59], v[152:155]// 00000000D84C: D3D70098 1E6275BA
	v_mfma_i32_16x16x32_i8 v[152:155], a[188:189], a[60:61], v[152:155]// 00000000D854: D3D70098 1E6279BC
	v_mfma_i32_16x16x32_i8 v[152:155], a[190:191], a[62:63], v[152:155]// 00000000D85C: D3D70098 1E627DBE
	v_mfma_i32_16x16x32_i8 v[120:123], a[176:177], a[64:65], v[120:123]// 00000000D864: D3D70078 1DE281B0
	v_mfma_i32_16x16x32_i8 v[120:123], a[178:179], a[66:67], v[120:123]// 00000000D86C: D3D70078 1DE285B2
	v_mfma_i32_16x16x32_i8 v[120:123], a[180:181], a[68:69], v[120:123]// 00000000D874: D3D70078 1DE289B4
	v_mfma_i32_16x16x32_i8 v[120:123], a[182:183], a[70:71], v[120:123]// 00000000D87C: D3D70078 1DE28DB6
	v_mfma_i32_16x16x32_i8 v[156:159], a[184:185], a[64:65], v[156:159]// 00000000D884: D3D7009C 1E7281B8
	v_mfma_i32_16x16x32_i8 v[156:159], a[186:187], a[66:67], v[156:159]// 00000000D88C: D3D7009C 1E7285BA
	v_mfma_i32_16x16x32_i8 v[156:159], a[188:189], a[68:69], v[156:159]// 00000000D894: D3D7009C 1E7289BC
	v_mfma_i32_16x16x32_i8 v[156:159], a[190:191], a[70:71], v[156:159]// 00000000D89C: D3D7009C 1E728DBE
	s_waitcnt vmcnt(22)                                        // 00000000D8A4: BF8C4F76
	s_barrier                                                  // 00000000D8A8: BF8A0000
	v_mfma_i32_16x16x32_i8 v[160:163], a[144:145], a[0:1], v[160:163]// 00000000D8AC: D3D700A0 1E820190
	buffer_load_dwordx4 a[176:179], v84, s[84:87], 0 offen     // 00000000D8B4: E05C1000 8095B054
	v_mfma_i32_16x16x32_i8 v[160:163], a[146:147], a[2:3], v[160:163]// 00000000D8BC: D3D700A0 1E820592
	v_mfma_i32_16x16x32_i8 v[160:163], a[148:149], a[4:5], v[160:163]// 00000000D8C4: D3D700A0 1E820994
	ds_read_b128 a[72:75], v2 offset:37120                     // 00000000D8CC: DBFE9100 48000002
	ds_read_b128 a[76:79], v2 offset:37184                     // 00000000D8D4: DBFE9140 4C000002
	v_mfma_i32_16x16x32_i8 v[160:163], a[150:151], a[6:7], v[160:163]// 00000000D8DC: D3D700A0 1E820D96
	v_mfma_i32_16x16x32_i8 v[196:199], a[152:153], a[0:1], v[196:199]// 00000000D8E4: D3D700C4 1F120198
	buffer_load_dwordx4 a[180:183], v84, s[84:87], 0 offen offset:1024// 00000000D8EC: E05C1400 8095B454
	v_mfma_i32_16x16x32_i8 v[196:199], a[154:155], a[2:3], v[196:199]// 00000000D8F4: D3D700C4 1F12059A
	v_mfma_i32_16x16x32_i8 v[196:199], a[156:157], a[4:5], v[196:199]// 00000000D8FC: D3D700C4 1F12099C
	ds_read_b128 a[80:83], v2 offset:37632                     // 00000000D904: DBFE9300 50000002
	ds_read_b128 a[84:87], v2 offset:37696                     // 00000000D90C: DBFE9340 54000002
	v_mfma_i32_16x16x32_i8 v[196:199], a[158:159], a[6:7], v[196:199]// 00000000D914: D3D700C4 1F120D9E
	v_mfma_i32_16x16x32_i8 v[164:167], a[144:145], a[8:9], v[164:167]// 00000000D91C: D3D700A4 1E921190
	buffer_load_dwordx4 a[184:187], v85, s[84:87], 0 offen     // 00000000D924: E05C1000 8095B855
	v_mfma_i32_16x16x32_i8 v[164:167], a[146:147], a[10:11], v[164:167]// 00000000D92C: D3D700A4 1E921592
	v_mfma_i32_16x16x32_i8 v[164:167], a[148:149], a[12:13], v[164:167]// 00000000D934: D3D700A4 1E921994
	ds_read_b128 a[88:91], v2 offset:38144                     // 00000000D93C: DBFE9500 58000002
	ds_read_b128 a[92:95], v2 offset:38208                     // 00000000D944: DBFE9540 5C000002
	v_mfma_i32_16x16x32_i8 v[164:167], a[150:151], a[14:15], v[164:167]// 00000000D94C: D3D700A4 1E921D96
	v_mfma_i32_16x16x32_i8 v[200:203], a[152:153], a[8:9], v[200:203]// 00000000D954: D3D700C8 1F221198
	buffer_load_dwordx4 a[188:191], v85, s[84:87], 0 offen offset:1024// 00000000D95C: E05C1400 8095BC55
	v_mfma_i32_16x16x32_i8 v[200:203], a[154:155], a[10:11], v[200:203]// 00000000D964: D3D700C8 1F22159A
	v_mfma_i32_16x16x32_i8 v[200:203], a[156:157], a[12:13], v[200:203]// 00000000D96C: D3D700C8 1F22199C
	ds_read_b128 a[96:99], v2 offset:38656                     // 00000000D974: DBFE9700 60000002
	ds_read_b128 a[100:103], v2 offset:38720                   // 00000000D97C: DBFE9740 64000002
	v_mfma_i32_16x16x32_i8 v[200:203], a[158:159], a[14:15], v[200:203]// 00000000D984: D3D700C8 1F221D9E
	v_mfma_i32_16x16x32_i8 v[168:171], a[144:145], a[16:17], v[168:171]// 00000000D98C: D3D700A8 1EA22190
	v_mfma_i32_16x16x32_i8 v[168:171], a[146:147], a[18:19], v[168:171]// 00000000D994: D3D700A8 1EA22592
	v_mfma_i32_16x16x32_i8 v[168:171], a[148:149], a[20:21], v[168:171]// 00000000D99C: D3D700A8 1EA22994
	ds_read_b128 a[104:107], v2 offset:39168                   // 00000000D9A4: DBFE9900 68000002
	ds_read_b128 a[108:111], v2 offset:39232                   // 00000000D9AC: DBFE9940 6C000002
	v_mfma_i32_16x16x32_i8 v[168:171], a[150:151], a[22:23], v[168:171]// 00000000D9B4: D3D700A8 1EA22D96
	v_mfma_i32_16x16x32_i8 v[204:207], a[152:153], a[16:17], v[204:207]// 00000000D9BC: D3D700CC 1F322198
	v_mfma_i32_16x16x32_i8 v[204:207], a[154:155], a[18:19], v[204:207]// 00000000D9C4: D3D700CC 1F32259A
	v_mfma_i32_16x16x32_i8 v[204:207], a[156:157], a[20:21], v[204:207]// 00000000D9CC: D3D700CC 1F32299C
	ds_read_b128 a[112:115], v2 offset:39680                   // 00000000D9D4: DBFE9B00 70000002
	ds_read_b128 a[116:119], v2 offset:39744                   // 00000000D9DC: DBFE9B40 74000002
	v_mfma_i32_16x16x32_i8 v[204:207], a[158:159], a[22:23], v[204:207]// 00000000D9E4: D3D700CC 1F322D9E
	v_mfma_i32_16x16x32_i8 v[172:175], a[144:145], a[24:25], v[172:175]// 00000000D9EC: D3D700AC 1EB23190
	v_mfma_i32_16x16x32_i8 v[172:175], a[146:147], a[26:27], v[172:175]// 00000000D9F4: D3D700AC 1EB23592
	v_mfma_i32_16x16x32_i8 v[172:175], a[148:149], a[28:29], v[172:175]// 00000000D9FC: D3D700AC 1EB23994
	ds_read_b128 a[120:123], v2 offset:40192                   // 00000000DA04: DBFE9D00 78000002
	ds_read_b128 a[124:127], v2 offset:40256                   // 00000000DA0C: DBFE9D40 7C000002
	v_mfma_i32_16x16x32_i8 v[172:175], a[150:151], a[30:31], v[172:175]// 00000000DA14: D3D700AC 1EB23D96
	v_mfma_i32_16x16x32_i8 v[208:211], a[152:153], a[24:25], v[208:211]// 00000000DA1C: D3D700D0 1F423198
	v_mfma_i32_16x16x32_i8 v[208:211], a[154:155], a[26:27], v[208:211]// 00000000DA24: D3D700D0 1F42359A
	v_mfma_i32_16x16x32_i8 v[208:211], a[156:157], a[28:29], v[208:211]// 00000000DA2C: D3D700D0 1F42399C
	ds_read_b128 a[128:131], v2 offset:40704                   // 00000000DA34: DBFE9F00 80000002
	ds_read_b128 a[132:135], v2 offset:40768                   // 00000000DA3C: DBFE9F40 84000002
	v_mfma_i32_16x16x32_i8 v[208:211], a[158:159], a[30:31], v[208:211]// 00000000DA44: D3D700D0 1F423D9E
	v_mfma_i32_16x16x32_i8 v[176:179], a[144:145], a[32:33], v[176:179]// 00000000DA4C: D3D700B0 1EC24190
	v_mfma_i32_16x16x32_i8 v[176:179], a[146:147], a[34:35], v[176:179]// 00000000DA54: D3D700B0 1EC24592
	v_mfma_i32_16x16x32_i8 v[176:179], a[148:149], a[36:37], v[176:179]// 00000000DA5C: D3D700B0 1EC24994
	ds_read_b128 a[136:139], v2 offset:41216                   // 00000000DA64: DBFEA100 88000002
	ds_read_b128 a[140:143], v2 offset:41280                   // 00000000DA6C: DBFEA140 8C000002
	v_mfma_i32_16x16x32_i8 v[176:179], a[150:151], a[38:39], v[176:179]// 00000000DA74: D3D700B0 1EC24D96
	v_mfma_i32_16x16x32_i8 v[212:215], a[152:153], a[32:33], v[212:215]// 00000000DA7C: D3D700D4 1F524198
	v_mfma_i32_16x16x32_i8 v[212:215], a[154:155], a[34:35], v[212:215]// 00000000DA84: D3D700D4 1F52459A
	v_mfma_i32_16x16x32_i8 v[212:215], a[156:157], a[36:37], v[212:215]// 00000000DA8C: D3D700D4 1F52499C
	v_mfma_i32_16x16x32_i8 v[212:215], a[158:159], a[38:39], v[212:215]// 00000000DA94: D3D700D4 1F524D9E
	v_mfma_i32_16x16x32_i8 v[180:183], a[144:145], a[40:41], v[180:183]// 00000000DA9C: D3D700B4 1ED25190
	v_mfma_i32_16x16x32_i8 v[180:183], a[146:147], a[42:43], v[180:183]// 00000000DAA4: D3D700B4 1ED25592
	v_mfma_i32_16x16x32_i8 v[180:183], a[148:149], a[44:45], v[180:183]// 00000000DAAC: D3D700B4 1ED25994
	v_mfma_i32_16x16x32_i8 v[180:183], a[150:151], a[46:47], v[180:183]// 00000000DAB4: D3D700B4 1ED25D96
	v_mfma_i32_16x16x32_i8 v[216:219], a[152:153], a[40:41], v[216:219]// 00000000DABC: D3D700D8 1F625198
	v_mfma_i32_16x16x32_i8 v[216:219], a[154:155], a[42:43], v[216:219]// 00000000DAC4: D3D700D8 1F62559A
	v_mfma_i32_16x16x32_i8 v[216:219], a[156:157], a[44:45], v[216:219]// 00000000DACC: D3D700D8 1F62599C
	v_mfma_i32_16x16x32_i8 v[216:219], a[158:159], a[46:47], v[216:219]// 00000000DAD4: D3D700D8 1F625D9E
	v_mfma_i32_16x16x32_i8 v[184:187], a[144:145], a[48:49], v[184:187]// 00000000DADC: D3D700B8 1EE26190
	v_mfma_i32_16x16x32_i8 v[184:187], a[146:147], a[50:51], v[184:187]// 00000000DAE4: D3D700B8 1EE26592
	v_mfma_i32_16x16x32_i8 v[184:187], a[148:149], a[52:53], v[184:187]// 00000000DAEC: D3D700B8 1EE26994
	v_mfma_i32_16x16x32_i8 v[184:187], a[150:151], a[54:55], v[184:187]// 00000000DAF4: D3D700B8 1EE26D96
	v_mfma_i32_16x16x32_i8 v[220:223], a[152:153], a[48:49], v[220:223]// 00000000DAFC: D3D700DC 1F726198
	v_mfma_i32_16x16x32_i8 v[220:223], a[154:155], a[50:51], v[220:223]// 00000000DB04: D3D700DC 1F72659A
	v_mfma_i32_16x16x32_i8 v[220:223], a[156:157], a[52:53], v[220:223]// 00000000DB0C: D3D700DC 1F72699C
	v_mfma_i32_16x16x32_i8 v[220:223], a[158:159], a[54:55], v[220:223]// 00000000DB14: D3D700DC 1F726D9E
	v_mfma_i32_16x16x32_i8 v[188:191], a[144:145], a[56:57], v[188:191]// 00000000DB1C: D3D700BC 1EF27190
	v_mfma_i32_16x16x32_i8 v[188:191], a[146:147], a[58:59], v[188:191]// 00000000DB24: D3D700BC 1EF27592
	v_mfma_i32_16x16x32_i8 v[188:191], a[148:149], a[60:61], v[188:191]// 00000000DB2C: D3D700BC 1EF27994
	v_mfma_i32_16x16x32_i8 v[188:191], a[150:151], a[62:63], v[188:191]// 00000000DB34: D3D700BC 1EF27D96
	v_mfma_i32_16x16x32_i8 v[224:227], a[152:153], a[56:57], v[224:227]// 00000000DB3C: D3D700E0 1F827198
	v_mfma_i32_16x16x32_i8 v[224:227], a[154:155], a[58:59], v[224:227]// 00000000DB44: D3D700E0 1F82759A
	v_mfma_i32_16x16x32_i8 v[224:227], a[156:157], a[60:61], v[224:227]// 00000000DB4C: D3D700E0 1F82799C
	v_mfma_i32_16x16x32_i8 v[224:227], a[158:159], a[62:63], v[224:227]// 00000000DB54: D3D700E0 1F827D9E
	v_mfma_i32_16x16x32_i8 v[192:195], a[144:145], a[64:65], v[192:195]// 00000000DB5C: D3D700C0 1F028190
	s_add_u32 s60, 0x180, s80                                  // 00000000DB64: 803C50FF 00000180
	s_cmp_lt_u32 s60, s81                                      // 00000000DB6C: BF0A513C
	s_cselect_b32 s57, s57, 0                                  // 00000000DB70: 85398039
	v_mfma_i32_16x16x32_i8 v[192:195], a[146:147], a[66:67], v[192:195]// 00000000DB74: D3D700C0 1F028592
	s_add_u32 s60, 0x100, s80                                  // 00000000DB7C: 803C50FF 00000100
	s_cmp_lt_u32 s60, s81                                      // 00000000DB84: BF0A513C
	s_cselect_b32 s58, s58, 0                                  // 00000000DB88: 853A803A
	v_mfma_i32_16x16x32_i8 v[192:195], a[148:149], a[68:69], v[192:195]// 00000000DB8C: D3D700C0 1F028994
	s_add_u32 s60, 0x100, s80                                  // 00000000DB94: 803C50FF 00000100
	s_cmp_lt_u32 s60, s81                                      // 00000000DB9C: BF0A513C
	s_cselect_b32 s83, s83, 0                                  // 00000000DBA0: 85538053
	v_mfma_i32_16x16x32_i8 v[192:195], a[150:151], a[70:71], v[192:195]// 00000000DBA4: D3D700C0 1F028D96
	s_add_u32 s24, s58, s24                                    // 00000000DBAC: 8018183A
	s_addc_u32 s25, 0, s25                                     // 00000000DBB0: 82191980
	v_mfma_i32_16x16x32_i8 v[228:231], a[152:153], a[64:65], v[228:231]// 00000000DBB4: D3D700E4 1F928198
	s_add_u32 s20, s57, s20                                    // 00000000DBBC: 80141439
	s_addc_u32 s21, 0, s21                                     // 00000000DBC0: 82151580
	v_mfma_i32_16x16x32_i8 v[228:231], a[154:155], a[66:67], v[228:231]// 00000000DBC4: D3D700E4 1F92859A
	s_add_u32 s84, s83, s84                                    // 00000000DBCC: 80545453
	s_addc_u32 s85, 0, s85                                     // 00000000DBD0: 82555580
	v_mfma_i32_16x16x32_i8 v[228:231], a[156:157], a[68:69], v[228:231]// 00000000DBD4: D3D700E4 1F92899C
	v_mfma_i32_16x16x32_i8 v[228:231], a[158:159], a[70:71], v[228:231]// 00000000DBDC: D3D700E4 1F928D9E
	s_addk_i32 s80, 0x80                                       // 00000000DBE4: B7500080
	s_cmp_lt_i32 s80, s81                                      // 00000000DBE8: BF045150
	s_cbranch_scc0 label_2E33                                  // 00000000DBEC: BF8401B4
	s_waitcnt vmcnt(22) lgkmcnt(0)                             // 00000000DBF0: BF8C4076
	v_mfma_i32_16x16x32_i8 v[88:91], a[160:161], a[72:73], v[88:91]// 00000000DBF4: D3D70058 1D6291A0
	buffer_load_dwordx4 a[144:147], v84, s[24:27], 0 offen     // 00000000DBFC: E05C1000 80869054
	v_mfma_i32_16x16x32_i8 v[88:91], a[162:163], a[74:75], v[88:91]// 00000000DC04: D3D70058 1D6295A2
	v_mfma_i32_16x16x32_i8 v[88:91], a[164:165], a[76:77], v[88:91]// 00000000DC0C: D3D70058 1D6299A4
	v_mfma_i32_16x16x32_i8 v[88:91], a[166:167], a[78:79], v[88:91]// 00000000DC14: D3D70058 1D629DA6
	v_mfma_i32_16x16x32_i8 v[124:127], a[168:169], a[72:73], v[124:127]// 00000000DC1C: D3D7007C 1DF291A8
	buffer_load_dwordx4 a[148:151], v84, s[24:27], 0 offen offset:1024// 00000000DC24: E05C1400 80869454
	v_mfma_i32_16x16x32_i8 v[124:127], a[170:171], a[74:75], v[124:127]// 00000000DC2C: D3D7007C 1DF295AA
	v_mfma_i32_16x16x32_i8 v[124:127], a[172:173], a[76:77], v[124:127]// 00000000DC34: D3D7007C 1DF299AC
	v_mfma_i32_16x16x32_i8 v[124:127], a[174:175], a[78:79], v[124:127]// 00000000DC3C: D3D7007C 1DF29DAE
	v_mfma_i32_16x16x32_i8 v[92:95], a[160:161], a[80:81], v[92:95]// 00000000DC44: D3D7005C 1D72A1A0
	buffer_load_dwordx4 a[152:155], v85, s[24:27], 0 offen     // 00000000DC4C: E05C1000 80869855
	v_mfma_i32_16x16x32_i8 v[92:95], a[162:163], a[82:83], v[92:95]// 00000000DC54: D3D7005C 1D72A5A2
	v_mfma_i32_16x16x32_i8 v[92:95], a[164:165], a[84:85], v[92:95]// 00000000DC5C: D3D7005C 1D72A9A4
	v_mfma_i32_16x16x32_i8 v[92:95], a[166:167], a[86:87], v[92:95]// 00000000DC64: D3D7005C 1D72ADA6
	v_mfma_i32_16x16x32_i8 v[128:131], a[168:169], a[80:81], v[128:131]// 00000000DC6C: D3D70080 1E02A1A8
	buffer_load_dwordx4 a[156:159], v85, s[24:27], 0 offen offset:1024// 00000000DC74: E05C1400 80869C55
	buffer_load_dword v66, s[20:23], 0 offen lds               // 00000000DC7C: E0511000 80050042
	s_add_u32 m0, 0x100, s49                                   // 00000000DC84: 807C31FF 00000100
	v_mfma_i32_16x16x32_i8 v[128:131], a[170:171], a[82:83], v[128:131]// 00000000DC8C: D3D70080 1E02A5AA
	v_mfma_i32_16x16x32_i8 v[128:131], a[172:173], a[84:85], v[128:131]// 00000000DC94: D3D70080 1E02A9AC
	buffer_load_dword v67, s[20:23], 0 offen lds               // 00000000DC9C: E0511000 80050043
	s_add_u32 m0, 0x200, s49                                   // 00000000DCA4: 807C31FF 00000200
	v_mfma_i32_16x16x32_i8 v[128:131], a[174:175], a[86:87], v[128:131]// 00000000DCAC: D3D70080 1E02ADAE
	v_mfma_i32_16x16x32_i8 v[96:99], a[160:161], a[88:89], v[96:99]// 00000000DCB4: D3D70060 1D82B1A0
	buffer_load_dword v68, s[20:23], 0 offen lds               // 00000000DCBC: E0511000 80050044
	s_add_u32 m0, 0x300, s49                                   // 00000000DCC4: 807C31FF 00000300
	v_mfma_i32_16x16x32_i8 v[96:99], a[162:163], a[90:91], v[96:99]// 00000000DCCC: D3D70060 1D82B5A2
	v_mfma_i32_16x16x32_i8 v[96:99], a[164:165], a[92:93], v[96:99]// 00000000DCD4: D3D70060 1D82B9A4
	buffer_load_dword v69, s[20:23], 0 offen lds               // 00000000DCDC: E0511000 80050045
	s_add_u32 m0, 0x400, s49                                   // 00000000DCE4: 807C31FF 00000400
	v_mfma_i32_16x16x32_i8 v[96:99], a[166:167], a[94:95], v[96:99]// 00000000DCEC: D3D70060 1D82BDA6
	v_mfma_i32_16x16x32_i8 v[132:135], a[168:169], a[88:89], v[132:135]// 00000000DCF4: D3D70084 1E12B1A8
	buffer_load_dword v70, s[20:23], 0 offen lds               // 00000000DCFC: E0511000 80050046
	s_add_u32 m0, 0x500, s49                                   // 00000000DD04: 807C31FF 00000500
	v_mfma_i32_16x16x32_i8 v[132:135], a[170:171], a[90:91], v[132:135]// 00000000DD0C: D3D70084 1E12B5AA
	v_mfma_i32_16x16x32_i8 v[132:135], a[172:173], a[92:93], v[132:135]// 00000000DD14: D3D70084 1E12B9AC
	buffer_load_dword v71, s[20:23], 0 offen lds               // 00000000DD1C: E0511000 80050047
	s_add_u32 m0, 0x600, s49                                   // 00000000DD24: 807C31FF 00000600
	v_mfma_i32_16x16x32_i8 v[132:135], a[174:175], a[94:95], v[132:135]// 00000000DD2C: D3D70084 1E12BDAE
	v_mfma_i32_16x16x32_i8 v[100:103], a[160:161], a[96:97], v[100:103]// 00000000DD34: D3D70064 1D92C1A0
	buffer_load_dword v72, s[20:23], 0 offen lds               // 00000000DD3C: E0511000 80050048
	s_add_u32 m0, 0x700, s49                                   // 00000000DD44: 807C31FF 00000700
	v_mfma_i32_16x16x32_i8 v[100:103], a[162:163], a[98:99], v[100:103]// 00000000DD4C: D3D70064 1D92C5A2
	v_mfma_i32_16x16x32_i8 v[100:103], a[164:165], a[100:101], v[100:103]// 00000000DD54: D3D70064 1D92C9A4
	buffer_load_dword v73, s[20:23], 0 offen lds               // 00000000DD5C: E0511000 80050049
	s_add_u32 m0, 0x800, s49                                   // 00000000DD64: 807C31FF 00000800
	v_mfma_i32_16x16x32_i8 v[100:103], a[166:167], a[102:103], v[100:103]// 00000000DD6C: D3D70064 1D92CDA6
	v_mfma_i32_16x16x32_i8 v[136:139], a[168:169], a[96:97], v[136:139]// 00000000DD74: D3D70088 1E22C1A8
	buffer_load_dword v74, s[20:23], 0 offen lds               // 00000000DD7C: E0511000 8005004A
	s_add_u32 m0, 0x900, s49                                   // 00000000DD84: 807C31FF 00000900
	v_mfma_i32_16x16x32_i8 v[136:139], a[170:171], a[98:99], v[136:139]// 00000000DD8C: D3D70088 1E22C5AA
	v_mfma_i32_16x16x32_i8 v[136:139], a[172:173], a[100:101], v[136:139]// 00000000DD94: D3D70088 1E22C9AC
	buffer_load_dword v75, s[20:23], 0 offen lds               // 00000000DD9C: E0511000 8005004B
	s_add_u32 m0, 0xa00, s49                                   // 00000000DDA4: 807C31FF 00000A00
	v_mfma_i32_16x16x32_i8 v[136:139], a[174:175], a[102:103], v[136:139]// 00000000DDAC: D3D70088 1E22CDAE
	v_mfma_i32_16x16x32_i8 v[104:107], a[160:161], a[104:105], v[104:107]// 00000000DDB4: D3D70068 1DA2D1A0
	buffer_load_dword v76, s[20:23], 0 offen lds               // 00000000DDBC: E0511000 8005004C
	s_add_u32 m0, 0xb00, s49                                   // 00000000DDC4: 807C31FF 00000B00
	v_mfma_i32_16x16x32_i8 v[104:107], a[162:163], a[106:107], v[104:107]// 00000000DDCC: D3D70068 1DA2D5A2
	v_mfma_i32_16x16x32_i8 v[104:107], a[164:165], a[108:109], v[104:107]// 00000000DDD4: D3D70068 1DA2D9A4
	buffer_load_dword v77, s[20:23], 0 offen lds               // 00000000DDDC: E0511000 8005004D
	s_add_u32 m0, 0xc00, s49                                   // 00000000DDE4: 807C31FF 00000C00
	v_mfma_i32_16x16x32_i8 v[104:107], a[166:167], a[110:111], v[104:107]// 00000000DDEC: D3D70068 1DA2DDA6
	v_mfma_i32_16x16x32_i8 v[140:143], a[168:169], a[104:105], v[140:143]// 00000000DDF4: D3D7008C 1E32D1A8
	buffer_load_dword v78, s[20:23], 0 offen lds               // 00000000DDFC: E0511000 8005004E
	s_add_u32 m0, 0xd00, s49                                   // 00000000DE04: 807C31FF 00000D00
	v_mfma_i32_16x16x32_i8 v[140:143], a[170:171], a[106:107], v[140:143]// 00000000DE0C: D3D7008C 1E32D5AA
	v_mfma_i32_16x16x32_i8 v[140:143], a[172:173], a[108:109], v[140:143]// 00000000DE14: D3D7008C 1E32D9AC
	buffer_load_dword v79, s[20:23], 0 offen lds               // 00000000DE1C: E0511000 8005004F
	s_add_u32 m0, 0xe00, s49                                   // 00000000DE24: 807C31FF 00000E00
	v_mfma_i32_16x16x32_i8 v[140:143], a[174:175], a[110:111], v[140:143]// 00000000DE2C: D3D7008C 1E32DDAE
	v_mfma_i32_16x16x32_i8 v[108:111], a[160:161], a[112:113], v[108:111]// 00000000DE34: D3D7006C 1DB2E1A0
	buffer_load_dword v80, s[20:23], 0 offen lds               // 00000000DE3C: E0511000 80050050
	s_add_u32 m0, 0xf00, s49                                   // 00000000DE44: 807C31FF 00000F00
	v_mfma_i32_16x16x32_i8 v[108:111], a[162:163], a[114:115], v[108:111]// 00000000DE4C: D3D7006C 1DB2E5A2
	v_mfma_i32_16x16x32_i8 v[108:111], a[164:165], a[116:117], v[108:111]// 00000000DE54: D3D7006C 1DB2E9A4
	buffer_load_dword v81, s[20:23], 0 offen lds               // 00000000DE5C: E0511000 80050051
	s_add_u32 m0, 0x1000, s49                                  // 00000000DE64: 807C31FF 00001000
	v_mfma_i32_16x16x32_i8 v[108:111], a[166:167], a[118:119], v[108:111]// 00000000DE6C: D3D7006C 1DB2EDA6
	v_mfma_i32_16x16x32_i8 v[144:147], a[168:169], a[112:113], v[144:147]// 00000000DE74: D3D70090 1E42E1A8
	buffer_load_dword v82, s[20:23], 0 offen lds               // 00000000DE7C: E0511000 80050052
	s_add_u32 m0, 0x1100, s49                                  // 00000000DE84: 807C31FF 00001100
	v_mfma_i32_16x16x32_i8 v[144:147], a[170:171], a[114:115], v[144:147]// 00000000DE8C: D3D70090 1E42E5AA
	v_mfma_i32_16x16x32_i8 v[144:147], a[172:173], a[116:117], v[144:147]// 00000000DE94: D3D70090 1E42E9AC
	buffer_load_dword v83, s[20:23], 0 offen lds               // 00000000DE9C: E0511000 80050053
	s_add_u32 m0, 0, s50                                       // 00000000DEA4: 807C3280
	v_mfma_i32_16x16x32_i8 v[144:147], a[174:175], a[118:119], v[144:147]// 00000000DEA8: D3D70090 1E42EDAE
	v_mfma_i32_16x16x32_i8 v[112:115], a[160:161], a[120:121], v[112:115]// 00000000DEB0: D3D70070 1DC2F1A0
	v_mfma_i32_16x16x32_i8 v[112:115], a[162:163], a[122:123], v[112:115]// 00000000DEB8: D3D70070 1DC2F5A2
	v_mfma_i32_16x16x32_i8 v[112:115], a[164:165], a[124:125], v[112:115]// 00000000DEC0: D3D70070 1DC2F9A4
	v_mfma_i32_16x16x32_i8 v[112:115], a[166:167], a[126:127], v[112:115]// 00000000DEC8: D3D70070 1DC2FDA6
	v_mfma_i32_16x16x32_i8 v[148:151], a[168:169], a[120:121], v[148:151]// 00000000DED0: D3D70094 1E52F1A8
	v_mfma_i32_16x16x32_i8 v[148:151], a[170:171], a[122:123], v[148:151]// 00000000DED8: D3D70094 1E52F5AA
	v_mfma_i32_16x16x32_i8 v[148:151], a[172:173], a[124:125], v[148:151]// 00000000DEE0: D3D70094 1E52F9AC
	v_mfma_i32_16x16x32_i8 v[148:151], a[174:175], a[126:127], v[148:151]// 00000000DEE8: D3D70094 1E52FDAE
	v_mfma_i32_16x16x32_i8 v[116:119], a[160:161], a[128:129], v[116:119]// 00000000DEF0: D3D70074 1DD301A0
	v_mfma_i32_16x16x32_i8 v[116:119], a[162:163], a[130:131], v[116:119]// 00000000DEF8: D3D70074 1DD305A2
	v_mfma_i32_16x16x32_i8 v[116:119], a[164:165], a[132:133], v[116:119]// 00000000DF00: D3D70074 1DD309A4
	v_mfma_i32_16x16x32_i8 v[116:119], a[166:167], a[134:135], v[116:119]// 00000000DF08: D3D70074 1DD30DA6
	v_mfma_i32_16x16x32_i8 v[152:155], a[168:169], a[128:129], v[152:155]// 00000000DF10: D3D70098 1E6301A8
	v_mfma_i32_16x16x32_i8 v[152:155], a[170:171], a[130:131], v[152:155]// 00000000DF18: D3D70098 1E6305AA
	v_mfma_i32_16x16x32_i8 v[152:155], a[172:173], a[132:133], v[152:155]// 00000000DF20: D3D70098 1E6309AC
	v_mfma_i32_16x16x32_i8 v[152:155], a[174:175], a[134:135], v[152:155]// 00000000DF28: D3D70098 1E630DAE
	v_mfma_i32_16x16x32_i8 v[120:123], a[160:161], a[136:137], v[120:123]// 00000000DF30: D3D70078 1DE311A0
	v_mfma_i32_16x16x32_i8 v[120:123], a[162:163], a[138:139], v[120:123]// 00000000DF38: D3D70078 1DE315A2
	v_mfma_i32_16x16x32_i8 v[120:123], a[164:165], a[140:141], v[120:123]// 00000000DF40: D3D70078 1DE319A4
	v_mfma_i32_16x16x32_i8 v[120:123], a[166:167], a[142:143], v[120:123]// 00000000DF48: D3D70078 1DE31DA6
	v_mfma_i32_16x16x32_i8 v[156:159], a[168:169], a[136:137], v[156:159]// 00000000DF50: D3D7009C 1E7311A8
	v_mfma_i32_16x16x32_i8 v[156:159], a[170:171], a[138:139], v[156:159]// 00000000DF58: D3D7009C 1E7315AA
	v_mfma_i32_16x16x32_i8 v[156:159], a[172:173], a[140:141], v[156:159]// 00000000DF60: D3D7009C 1E7319AC
	v_mfma_i32_16x16x32_i8 v[156:159], a[174:175], a[142:143], v[156:159]// 00000000DF68: D3D7009C 1E731DAE
	s_waitcnt vmcnt(22)                                        // 00000000DF70: BF8C4F76
	s_barrier                                                  // 00000000DF74: BF8A0000
	v_mfma_i32_16x16x32_i8 v[160:163], a[176:177], a[72:73], v[160:163]// 00000000DF78: D3D700A0 1E8291B0
	buffer_load_dwordx4 a[160:163], v84, s[84:87], 0 offen     // 00000000DF80: E05C1000 8095A054
	v_mfma_i32_16x16x32_i8 v[160:163], a[178:179], a[74:75], v[160:163]// 00000000DF88: D3D700A0 1E8295B2
	v_mfma_i32_16x16x32_i8 v[160:163], a[180:181], a[76:77], v[160:163]// 00000000DF90: D3D700A0 1E8299B4
	ds_read_b128 a[0:3], v2                                    // 00000000DF98: DBFE0000 00000002
	ds_read_b128 a[4:7], v2 offset:64                          // 00000000DFA0: DBFE0040 04000002
	v_mfma_i32_16x16x32_i8 v[160:163], a[182:183], a[78:79], v[160:163]// 00000000DFA8: D3D700A0 1E829DB6
	v_mfma_i32_16x16x32_i8 v[196:199], a[184:185], a[72:73], v[196:199]// 00000000DFB0: D3D700C4 1F1291B8
	buffer_load_dwordx4 a[164:167], v84, s[84:87], 0 offen offset:1024// 00000000DFB8: E05C1400 8095A454
	v_mfma_i32_16x16x32_i8 v[196:199], a[186:187], a[74:75], v[196:199]// 00000000DFC0: D3D700C4 1F1295BA
	v_mfma_i32_16x16x32_i8 v[196:199], a[188:189], a[76:77], v[196:199]// 00000000DFC8: D3D700C4 1F1299BC
	ds_read_b128 a[8:11], v2 offset:512                        // 00000000DFD0: DBFE0200 08000002
	ds_read_b128 a[12:15], v2 offset:576                       // 00000000DFD8: DBFE0240 0C000002
	v_mfma_i32_16x16x32_i8 v[196:199], a[190:191], a[78:79], v[196:199]// 00000000DFE0: D3D700C4 1F129DBE
	v_mfma_i32_16x16x32_i8 v[164:167], a[176:177], a[80:81], v[164:167]// 00000000DFE8: D3D700A4 1E92A1B0
	buffer_load_dwordx4 a[168:171], v85, s[84:87], 0 offen     // 00000000DFF0: E05C1000 8095A855
	v_mfma_i32_16x16x32_i8 v[164:167], a[178:179], a[82:83], v[164:167]// 00000000DFF8: D3D700A4 1E92A5B2
	v_mfma_i32_16x16x32_i8 v[164:167], a[180:181], a[84:85], v[164:167]// 00000000E000: D3D700A4 1E92A9B4
	ds_read_b128 a[16:19], v2 offset:1024                      // 00000000E008: DBFE0400 10000002
	ds_read_b128 a[20:23], v2 offset:1088                      // 00000000E010: DBFE0440 14000002
	v_mfma_i32_16x16x32_i8 v[164:167], a[182:183], a[86:87], v[164:167]// 00000000E018: D3D700A4 1E92ADB6
	v_mfma_i32_16x16x32_i8 v[200:203], a[184:185], a[80:81], v[200:203]// 00000000E020: D3D700C8 1F22A1B8
	buffer_load_dwordx4 a[172:175], v85, s[84:87], 0 offen offset:1024// 00000000E028: E05C1400 8095AC55
	v_mfma_i32_16x16x32_i8 v[200:203], a[186:187], a[82:83], v[200:203]// 00000000E030: D3D700C8 1F22A5BA
	v_mfma_i32_16x16x32_i8 v[200:203], a[188:189], a[84:85], v[200:203]// 00000000E038: D3D700C8 1F22A9BC
	ds_read_b128 a[24:27], v2 offset:1536                      // 00000000E040: DBFE0600 18000002
	ds_read_b128 a[28:31], v2 offset:1600                      // 00000000E048: DBFE0640 1C000002
	v_mfma_i32_16x16x32_i8 v[200:203], a[190:191], a[86:87], v[200:203]// 00000000E050: D3D700C8 1F22ADBE
	v_mfma_i32_16x16x32_i8 v[168:171], a[176:177], a[88:89], v[168:171]// 00000000E058: D3D700A8 1EA2B1B0
	v_mfma_i32_16x16x32_i8 v[168:171], a[178:179], a[90:91], v[168:171]// 00000000E060: D3D700A8 1EA2B5B2
	v_mfma_i32_16x16x32_i8 v[168:171], a[180:181], a[92:93], v[168:171]// 00000000E068: D3D700A8 1EA2B9B4
	ds_read_b128 a[32:35], v2 offset:2048                      // 00000000E070: DBFE0800 20000002
	ds_read_b128 a[36:39], v2 offset:2112                      // 00000000E078: DBFE0840 24000002
	v_mfma_i32_16x16x32_i8 v[168:171], a[182:183], a[94:95], v[168:171]// 00000000E080: D3D700A8 1EA2BDB6
	v_mfma_i32_16x16x32_i8 v[204:207], a[184:185], a[88:89], v[204:207]// 00000000E088: D3D700CC 1F32B1B8
	v_mfma_i32_16x16x32_i8 v[204:207], a[186:187], a[90:91], v[204:207]// 00000000E090: D3D700CC 1F32B5BA
	v_mfma_i32_16x16x32_i8 v[204:207], a[188:189], a[92:93], v[204:207]// 00000000E098: D3D700CC 1F32B9BC
	ds_read_b128 a[40:43], v2 offset:2560                      // 00000000E0A0: DBFE0A00 28000002
	ds_read_b128 a[44:47], v2 offset:2624                      // 00000000E0A8: DBFE0A40 2C000002
	v_mfma_i32_16x16x32_i8 v[204:207], a[190:191], a[94:95], v[204:207]// 00000000E0B0: D3D700CC 1F32BDBE
	v_mfma_i32_16x16x32_i8 v[172:175], a[176:177], a[96:97], v[172:175]// 00000000E0B8: D3D700AC 1EB2C1B0
	v_mfma_i32_16x16x32_i8 v[172:175], a[178:179], a[98:99], v[172:175]// 00000000E0C0: D3D700AC 1EB2C5B2
	v_mfma_i32_16x16x32_i8 v[172:175], a[180:181], a[100:101], v[172:175]// 00000000E0C8: D3D700AC 1EB2C9B4
	ds_read_b128 a[48:51], v2 offset:3072                      // 00000000E0D0: DBFE0C00 30000002
	ds_read_b128 a[52:55], v2 offset:3136                      // 00000000E0D8: DBFE0C40 34000002
	v_mfma_i32_16x16x32_i8 v[172:175], a[182:183], a[102:103], v[172:175]// 00000000E0E0: D3D700AC 1EB2CDB6
	v_mfma_i32_16x16x32_i8 v[208:211], a[184:185], a[96:97], v[208:211]// 00000000E0E8: D3D700D0 1F42C1B8
	v_mfma_i32_16x16x32_i8 v[208:211], a[186:187], a[98:99], v[208:211]// 00000000E0F0: D3D700D0 1F42C5BA
	v_mfma_i32_16x16x32_i8 v[208:211], a[188:189], a[100:101], v[208:211]// 00000000E0F8: D3D700D0 1F42C9BC
	ds_read_b128 a[56:59], v2 offset:3584                      // 00000000E100: DBFE0E00 38000002
	ds_read_b128 a[60:63], v2 offset:3648                      // 00000000E108: DBFE0E40 3C000002
	v_mfma_i32_16x16x32_i8 v[208:211], a[190:191], a[102:103], v[208:211]// 00000000E110: D3D700D0 1F42CDBE
	v_mfma_i32_16x16x32_i8 v[176:179], a[176:177], a[104:105], v[176:179]// 00000000E118: D3D700B0 1EC2D1B0
	v_mfma_i32_16x16x32_i8 v[176:179], a[178:179], a[106:107], v[176:179]// 00000000E120: D3D700B0 1EC2D5B2
	v_mfma_i32_16x16x32_i8 v[176:179], a[180:181], a[108:109], v[176:179]// 00000000E128: D3D700B0 1EC2D9B4
	ds_read_b128 a[64:67], v2 offset:4096                      // 00000000E130: DBFE1000 40000002
	ds_read_b128 a[68:71], v2 offset:4160                      // 00000000E138: DBFE1040 44000002
	v_mfma_i32_16x16x32_i8 v[176:179], a[182:183], a[110:111], v[176:179]// 00000000E140: D3D700B0 1EC2DDB6
	v_mfma_i32_16x16x32_i8 v[212:215], a[184:185], a[104:105], v[212:215]// 00000000E148: D3D700D4 1F52D1B8
	v_mfma_i32_16x16x32_i8 v[212:215], a[186:187], a[106:107], v[212:215]// 00000000E150: D3D700D4 1F52D5BA
	v_mfma_i32_16x16x32_i8 v[212:215], a[188:189], a[108:109], v[212:215]// 00000000E158: D3D700D4 1F52D9BC
	v_mfma_i32_16x16x32_i8 v[212:215], a[190:191], a[110:111], v[212:215]// 00000000E160: D3D700D4 1F52DDBE
	v_mfma_i32_16x16x32_i8 v[180:183], a[176:177], a[112:113], v[180:183]// 00000000E168: D3D700B4 1ED2E1B0
	v_mfma_i32_16x16x32_i8 v[180:183], a[178:179], a[114:115], v[180:183]// 00000000E170: D3D700B4 1ED2E5B2
	v_mfma_i32_16x16x32_i8 v[180:183], a[180:181], a[116:117], v[180:183]// 00000000E178: D3D700B4 1ED2E9B4
	v_mfma_i32_16x16x32_i8 v[180:183], a[182:183], a[118:119], v[180:183]// 00000000E180: D3D700B4 1ED2EDB6
	v_mfma_i32_16x16x32_i8 v[216:219], a[184:185], a[112:113], v[216:219]// 00000000E188: D3D700D8 1F62E1B8
	v_mfma_i32_16x16x32_i8 v[216:219], a[186:187], a[114:115], v[216:219]// 00000000E190: D3D700D8 1F62E5BA
	v_mfma_i32_16x16x32_i8 v[216:219], a[188:189], a[116:117], v[216:219]// 00000000E198: D3D700D8 1F62E9BC
	v_mfma_i32_16x16x32_i8 v[216:219], a[190:191], a[118:119], v[216:219]// 00000000E1A0: D3D700D8 1F62EDBE
	v_mfma_i32_16x16x32_i8 v[184:187], a[176:177], a[120:121], v[184:187]// 00000000E1A8: D3D700B8 1EE2F1B0
	v_mfma_i32_16x16x32_i8 v[184:187], a[178:179], a[122:123], v[184:187]// 00000000E1B0: D3D700B8 1EE2F5B2
	v_mfma_i32_16x16x32_i8 v[184:187], a[180:181], a[124:125], v[184:187]// 00000000E1B8: D3D700B8 1EE2F9B4
	v_mfma_i32_16x16x32_i8 v[184:187], a[182:183], a[126:127], v[184:187]// 00000000E1C0: D3D700B8 1EE2FDB6
	v_mfma_i32_16x16x32_i8 v[220:223], a[184:185], a[120:121], v[220:223]// 00000000E1C8: D3D700DC 1F72F1B8
	v_mfma_i32_16x16x32_i8 v[220:223], a[186:187], a[122:123], v[220:223]// 00000000E1D0: D3D700DC 1F72F5BA
	v_mfma_i32_16x16x32_i8 v[220:223], a[188:189], a[124:125], v[220:223]// 00000000E1D8: D3D700DC 1F72F9BC
	v_mfma_i32_16x16x32_i8 v[220:223], a[190:191], a[126:127], v[220:223]// 00000000E1E0: D3D700DC 1F72FDBE
	v_mfma_i32_16x16x32_i8 v[188:191], a[176:177], a[128:129], v[188:191]// 00000000E1E8: D3D700BC 1EF301B0
	v_mfma_i32_16x16x32_i8 v[188:191], a[178:179], a[130:131], v[188:191]// 00000000E1F0: D3D700BC 1EF305B2
	v_mfma_i32_16x16x32_i8 v[188:191], a[180:181], a[132:133], v[188:191]// 00000000E1F8: D3D700BC 1EF309B4
	v_mfma_i32_16x16x32_i8 v[188:191], a[182:183], a[134:135], v[188:191]// 00000000E200: D3D700BC 1EF30DB6
	v_mfma_i32_16x16x32_i8 v[224:227], a[184:185], a[128:129], v[224:227]// 00000000E208: D3D700E0 1F8301B8
	v_mfma_i32_16x16x32_i8 v[224:227], a[186:187], a[130:131], v[224:227]// 00000000E210: D3D700E0 1F8305BA
	v_mfma_i32_16x16x32_i8 v[224:227], a[188:189], a[132:133], v[224:227]// 00000000E218: D3D700E0 1F8309BC
	v_mfma_i32_16x16x32_i8 v[224:227], a[190:191], a[134:135], v[224:227]// 00000000E220: D3D700E0 1F830DBE
	v_mfma_i32_16x16x32_i8 v[192:195], a[176:177], a[136:137], v[192:195]// 00000000E228: D3D700C0 1F0311B0
	s_add_u32 s60, 0x180, s80                                  // 00000000E230: 803C50FF 00000180
	s_cmp_lt_u32 s60, s81                                      // 00000000E238: BF0A513C
	s_cselect_b32 s57, s57, 0                                  // 00000000E23C: 85398039
	v_mfma_i32_16x16x32_i8 v[192:195], a[178:179], a[138:139], v[192:195]// 00000000E240: D3D700C0 1F0315B2
	s_add_u32 s60, 0x100, s80                                  // 00000000E248: 803C50FF 00000100
	s_cmp_lt_u32 s60, s81                                      // 00000000E250: BF0A513C
	s_cselect_b32 s58, s58, 0                                  // 00000000E254: 853A803A
	v_mfma_i32_16x16x32_i8 v[192:195], a[180:181], a[140:141], v[192:195]// 00000000E258: D3D700C0 1F0319B4
	s_add_u32 s60, 0x100, s80                                  // 00000000E260: 803C50FF 00000100
	s_cmp_lt_u32 s60, s81                                      // 00000000E268: BF0A513C
	s_cselect_b32 s83, s83, 0                                  // 00000000E26C: 85538053
	v_mfma_i32_16x16x32_i8 v[192:195], a[182:183], a[142:143], v[192:195]// 00000000E270: D3D700C0 1F031DB6
	s_add_u32 s24, s58, s24                                    // 00000000E278: 8018183A
	s_addc_u32 s25, 0, s25                                     // 00000000E27C: 82191980
	v_mfma_i32_16x16x32_i8 v[228:231], a[184:185], a[136:137], v[228:231]// 00000000E280: D3D700E4 1F9311B8
	s_add_u32 s20, s57, s20                                    // 00000000E288: 80141439
	s_addc_u32 s21, 0, s21                                     // 00000000E28C: 82151580
	v_mfma_i32_16x16x32_i8 v[228:231], a[186:187], a[138:139], v[228:231]// 00000000E290: D3D700E4 1F9315BA
	s_add_u32 s84, s83, s84                                    // 00000000E298: 80545453
	s_addc_u32 s85, 0, s85                                     // 00000000E29C: 82555580
	v_mfma_i32_16x16x32_i8 v[228:231], a[188:189], a[140:141], v[228:231]// 00000000E2A0: D3D700E4 1F9319BC
	v_mfma_i32_16x16x32_i8 v[228:231], a[190:191], a[142:143], v[228:231]// 00000000E2A8: D3D700E4 1F931DBE
	s_addk_i32 s80, 0x80                                       // 00000000E2B0: B7500080
	s_cmp_lt_i32 s80, s81                                      // 00000000E2B4: BF045150
	s_cbranch_scc0 label_2E33                                  // 00000000E2B8: BF840001
	s_branch label_2400                                        // 00000000E2BC: BF82F5CD

000000000000e2c0 <label_2E33>:
	v_cvt_f32_i32_e32 v88, v88                                 // 00000000E2C0: 7EB00B58
	v_cvt_f32_i32_e32 v89, v89                                 // 00000000E2C4: 7EB20B59
	v_cvt_f32_i32_e32 v90, v90                                 // 00000000E2C8: 7EB40B5A
	v_cvt_f32_i32_e32 v91, v91                                 // 00000000E2CC: 7EB60B5B
	v_mul_f32_dpp v88, v24, v88 row_newbcast:0 row_mask:0xf bank_mask:0xf// 00000000E2D0: 0AB0B0FA FF015018
	v_mul_f32_dpp v89, v24, v89 row_newbcast:1 row_mask:0xf bank_mask:0xf// 00000000E2D8: 0AB2B2FA FF015118
	v_mul_f32_dpp v90, v24, v90 row_newbcast:2 row_mask:0xf bank_mask:0xf// 00000000E2E0: 0AB4B4FA FF015218
	v_mul_f32_dpp v91, v24, v91 row_newbcast:3 row_mask:0xf bank_mask:0xf// 00000000E2E8: 0AB6B6FA FF015318
	v_cvt_f32_i32_e32 v92, v92                                 // 00000000E2F0: 7EB80B5C
	v_cvt_f32_i32_e32 v93, v93                                 // 00000000E2F4: 7EBA0B5D
	v_cvt_f32_i32_e32 v94, v94                                 // 00000000E2F8: 7EBC0B5E
	v_cvt_f32_i32_e32 v95, v95                                 // 00000000E2FC: 7EBE0B5F
	v_mul_f32_dpp v92, v24, v92 row_newbcast:0 row_mask:0xf bank_mask:0xf// 00000000E300: 0AB8B8FA FF015018
	v_mul_f32_dpp v93, v24, v93 row_newbcast:1 row_mask:0xf bank_mask:0xf// 00000000E308: 0ABABAFA FF015118
	v_mul_f32_dpp v94, v24, v94 row_newbcast:2 row_mask:0xf bank_mask:0xf// 00000000E310: 0ABCBCFA FF015218
	v_mul_f32_dpp v95, v24, v95 row_newbcast:3 row_mask:0xf bank_mask:0xf// 00000000E318: 0ABEBEFA FF015318
	v_cvt_f32_i32_e32 v96, v96                                 // 00000000E320: 7EC00B60
	v_cvt_f32_i32_e32 v97, v97                                 // 00000000E324: 7EC20B61
	v_cvt_f32_i32_e32 v98, v98                                 // 00000000E328: 7EC40B62
	v_cvt_f32_i32_e32 v99, v99                                 // 00000000E32C: 7EC60B63
	v_mul_f32_dpp v96, v24, v96 row_newbcast:0 row_mask:0xf bank_mask:0xf// 00000000E330: 0AC0C0FA FF015018
	v_mul_f32_dpp v97, v24, v97 row_newbcast:1 row_mask:0xf bank_mask:0xf// 00000000E338: 0AC2C2FA FF015118
	v_mul_f32_dpp v98, v24, v98 row_newbcast:2 row_mask:0xf bank_mask:0xf// 00000000E340: 0AC4C4FA FF015218
	v_mul_f32_dpp v99, v24, v99 row_newbcast:3 row_mask:0xf bank_mask:0xf// 00000000E348: 0AC6C6FA FF015318
	v_cvt_f32_i32_e32 v100, v100                               // 00000000E350: 7EC80B64
	v_cvt_f32_i32_e32 v101, v101                               // 00000000E354: 7ECA0B65
	v_cvt_f32_i32_e32 v102, v102                               // 00000000E358: 7ECC0B66
	v_cvt_f32_i32_e32 v103, v103                               // 00000000E35C: 7ECE0B67
	v_mul_f32_dpp v100, v24, v100 row_newbcast:0 row_mask:0xf bank_mask:0xf// 00000000E360: 0AC8C8FA FF015018
	v_mul_f32_dpp v101, v24, v101 row_newbcast:1 row_mask:0xf bank_mask:0xf// 00000000E368: 0ACACAFA FF015118
	v_mul_f32_dpp v102, v24, v102 row_newbcast:2 row_mask:0xf bank_mask:0xf// 00000000E370: 0ACCCCFA FF015218
	v_mul_f32_dpp v103, v24, v103 row_newbcast:3 row_mask:0xf bank_mask:0xf// 00000000E378: 0ACECEFA FF015318
	v_cvt_f32_i32_e32 v104, v104                               // 00000000E380: 7ED00B68
	v_cvt_f32_i32_e32 v105, v105                               // 00000000E384: 7ED20B69
	v_cvt_f32_i32_e32 v106, v106                               // 00000000E388: 7ED40B6A
	v_cvt_f32_i32_e32 v107, v107                               // 00000000E38C: 7ED60B6B
	v_mul_f32_dpp v104, v24, v104 row_newbcast:0 row_mask:0xf bank_mask:0xf// 00000000E390: 0AD0D0FA FF015018
	v_mul_f32_dpp v105, v24, v105 row_newbcast:1 row_mask:0xf bank_mask:0xf// 00000000E398: 0AD2D2FA FF015118
	v_mul_f32_dpp v106, v24, v106 row_newbcast:2 row_mask:0xf bank_mask:0xf// 00000000E3A0: 0AD4D4FA FF015218
	v_mul_f32_dpp v107, v24, v107 row_newbcast:3 row_mask:0xf bank_mask:0xf// 00000000E3A8: 0AD6D6FA FF015318
	v_cvt_f32_i32_e32 v108, v108                               // 00000000E3B0: 7ED80B6C
	v_cvt_f32_i32_e32 v109, v109                               // 00000000E3B4: 7EDA0B6D
	v_cvt_f32_i32_e32 v110, v110                               // 00000000E3B8: 7EDC0B6E
	v_cvt_f32_i32_e32 v111, v111                               // 00000000E3BC: 7EDE0B6F
	v_mul_f32_dpp v108, v24, v108 row_newbcast:0 row_mask:0xf bank_mask:0xf// 00000000E3C0: 0AD8D8FA FF015018
	v_mul_f32_dpp v109, v24, v109 row_newbcast:1 row_mask:0xf bank_mask:0xf// 00000000E3C8: 0ADADAFA FF015118
	v_mul_f32_dpp v110, v24, v110 row_newbcast:2 row_mask:0xf bank_mask:0xf// 00000000E3D0: 0ADCDCFA FF015218
	v_mul_f32_dpp v111, v24, v111 row_newbcast:3 row_mask:0xf bank_mask:0xf// 00000000E3D8: 0ADEDEFA FF015318
	v_cvt_f32_i32_e32 v112, v112                               // 00000000E3E0: 7EE00B70
	v_cvt_f32_i32_e32 v113, v113                               // 00000000E3E4: 7EE20B71
	v_cvt_f32_i32_e32 v114, v114                               // 00000000E3E8: 7EE40B72
	v_cvt_f32_i32_e32 v115, v115                               // 00000000E3EC: 7EE60B73
	v_mul_f32_dpp v112, v24, v112 row_newbcast:0 row_mask:0xf bank_mask:0xf// 00000000E3F0: 0AE0E0FA FF015018
	v_mul_f32_dpp v113, v24, v113 row_newbcast:1 row_mask:0xf bank_mask:0xf// 00000000E3F8: 0AE2E2FA FF015118
	v_mul_f32_dpp v114, v24, v114 row_newbcast:2 row_mask:0xf bank_mask:0xf// 00000000E400: 0AE4E4FA FF015218
	v_mul_f32_dpp v115, v24, v115 row_newbcast:3 row_mask:0xf bank_mask:0xf// 00000000E408: 0AE6E6FA FF015318
	v_cvt_f32_i32_e32 v116, v116                               // 00000000E410: 7EE80B74
	v_cvt_f32_i32_e32 v117, v117                               // 00000000E414: 7EEA0B75
	v_cvt_f32_i32_e32 v118, v118                               // 00000000E418: 7EEC0B76
	v_cvt_f32_i32_e32 v119, v119                               // 00000000E41C: 7EEE0B77
	v_mul_f32_dpp v116, v24, v116 row_newbcast:0 row_mask:0xf bank_mask:0xf// 00000000E420: 0AE8E8FA FF015018
	v_mul_f32_dpp v117, v24, v117 row_newbcast:1 row_mask:0xf bank_mask:0xf// 00000000E428: 0AEAEAFA FF015118
	v_mul_f32_dpp v118, v24, v118 row_newbcast:2 row_mask:0xf bank_mask:0xf// 00000000E430: 0AECECFA FF015218
	v_mul_f32_dpp v119, v24, v119 row_newbcast:3 row_mask:0xf bank_mask:0xf// 00000000E438: 0AEEEEFA FF015318
	v_cvt_f32_i32_e32 v120, v120                               // 00000000E440: 7EF00B78
	v_cvt_f32_i32_e32 v121, v121                               // 00000000E444: 7EF20B79
	v_cvt_f32_i32_e32 v122, v122                               // 00000000E448: 7EF40B7A
	v_cvt_f32_i32_e32 v123, v123                               // 00000000E44C: 7EF60B7B
	v_mul_f32_dpp v120, v24, v120 row_newbcast:0 row_mask:0xf bank_mask:0xf// 00000000E450: 0AF0F0FA FF015018
	v_mul_f32_dpp v121, v24, v121 row_newbcast:1 row_mask:0xf bank_mask:0xf// 00000000E458: 0AF2F2FA FF015118
	v_mul_f32_dpp v122, v24, v122 row_newbcast:2 row_mask:0xf bank_mask:0xf// 00000000E460: 0AF4F4FA FF015218
	v_mul_f32_dpp v123, v24, v123 row_newbcast:3 row_mask:0xf bank_mask:0xf// 00000000E468: 0AF6F6FA FF015318
	v_cvt_f32_i32_e32 v124, v124                               // 00000000E470: 7EF80B7C
	v_cvt_f32_i32_e32 v125, v125                               // 00000000E474: 7EFA0B7D
	v_cvt_f32_i32_e32 v126, v126                               // 00000000E478: 7EFC0B7E
	v_cvt_f32_i32_e32 v127, v127                               // 00000000E47C: 7EFE0B7F
	v_mul_f32_dpp v124, v24, v124 row_newbcast:4 row_mask:0xf bank_mask:0xf// 00000000E480: 0AF8F8FA FF015418
	v_mul_f32_dpp v125, v24, v125 row_newbcast:5 row_mask:0xf bank_mask:0xf// 00000000E488: 0AFAFAFA FF015518
	v_mul_f32_dpp v126, v24, v126 row_newbcast:6 row_mask:0xf bank_mask:0xf// 00000000E490: 0AFCFCFA FF015618
	v_mul_f32_dpp v127, v24, v127 row_newbcast:7 row_mask:0xf bank_mask:0xf// 00000000E498: 0AFEFEFA FF015718
	v_cvt_f32_i32_e32 v128, v128                               // 00000000E4A0: 7F000B80
	v_cvt_f32_i32_e32 v129, v129                               // 00000000E4A4: 7F020B81
	v_cvt_f32_i32_e32 v130, v130                               // 00000000E4A8: 7F040B82
	v_cvt_f32_i32_e32 v131, v131                               // 00000000E4AC: 7F060B83
	v_mul_f32_dpp v128, v24, v128 row_newbcast:4 row_mask:0xf bank_mask:0xf// 00000000E4B0: 0B0100FA FF015418
	v_mul_f32_dpp v129, v24, v129 row_newbcast:5 row_mask:0xf bank_mask:0xf// 00000000E4B8: 0B0302FA FF015518
	v_mul_f32_dpp v130, v24, v130 row_newbcast:6 row_mask:0xf bank_mask:0xf// 00000000E4C0: 0B0504FA FF015618
	v_mul_f32_dpp v131, v24, v131 row_newbcast:7 row_mask:0xf bank_mask:0xf// 00000000E4C8: 0B0706FA FF015718
	v_cvt_f32_i32_e32 v132, v132                               // 00000000E4D0: 7F080B84
	v_cvt_f32_i32_e32 v133, v133                               // 00000000E4D4: 7F0A0B85
	v_cvt_f32_i32_e32 v134, v134                               // 00000000E4D8: 7F0C0B86
	v_cvt_f32_i32_e32 v135, v135                               // 00000000E4DC: 7F0E0B87
	v_mul_f32_dpp v132, v24, v132 row_newbcast:4 row_mask:0xf bank_mask:0xf// 00000000E4E0: 0B0908FA FF015418
	v_mul_f32_dpp v133, v24, v133 row_newbcast:5 row_mask:0xf bank_mask:0xf// 00000000E4E8: 0B0B0AFA FF015518
	v_mul_f32_dpp v134, v24, v134 row_newbcast:6 row_mask:0xf bank_mask:0xf// 00000000E4F0: 0B0D0CFA FF015618
	v_mul_f32_dpp v135, v24, v135 row_newbcast:7 row_mask:0xf bank_mask:0xf// 00000000E4F8: 0B0F0EFA FF015718
	v_cvt_f32_i32_e32 v136, v136                               // 00000000E500: 7F100B88
	v_cvt_f32_i32_e32 v137, v137                               // 00000000E504: 7F120B89
	v_cvt_f32_i32_e32 v138, v138                               // 00000000E508: 7F140B8A
	v_cvt_f32_i32_e32 v139, v139                               // 00000000E50C: 7F160B8B
	v_mul_f32_dpp v136, v24, v136 row_newbcast:4 row_mask:0xf bank_mask:0xf// 00000000E510: 0B1110FA FF015418
	v_mul_f32_dpp v137, v24, v137 row_newbcast:5 row_mask:0xf bank_mask:0xf// 00000000E518: 0B1312FA FF015518
	v_mul_f32_dpp v138, v24, v138 row_newbcast:6 row_mask:0xf bank_mask:0xf// 00000000E520: 0B1514FA FF015618
	v_mul_f32_dpp v139, v24, v139 row_newbcast:7 row_mask:0xf bank_mask:0xf// 00000000E528: 0B1716FA FF015718
	v_cvt_f32_i32_e32 v140, v140                               // 00000000E530: 7F180B8C
	v_cvt_f32_i32_e32 v141, v141                               // 00000000E534: 7F1A0B8D
	v_cvt_f32_i32_e32 v142, v142                               // 00000000E538: 7F1C0B8E
	v_cvt_f32_i32_e32 v143, v143                               // 00000000E53C: 7F1E0B8F
	v_mul_f32_dpp v140, v24, v140 row_newbcast:4 row_mask:0xf bank_mask:0xf// 00000000E540: 0B1918FA FF015418
	v_mul_f32_dpp v141, v24, v141 row_newbcast:5 row_mask:0xf bank_mask:0xf// 00000000E548: 0B1B1AFA FF015518
	v_mul_f32_dpp v142, v24, v142 row_newbcast:6 row_mask:0xf bank_mask:0xf// 00000000E550: 0B1D1CFA FF015618
	v_mul_f32_dpp v143, v24, v143 row_newbcast:7 row_mask:0xf bank_mask:0xf// 00000000E558: 0B1F1EFA FF015718
	v_cvt_f32_i32_e32 v144, v144                               // 00000000E560: 7F200B90
	v_cvt_f32_i32_e32 v145, v145                               // 00000000E564: 7F220B91
	v_cvt_f32_i32_e32 v146, v146                               // 00000000E568: 7F240B92
	v_cvt_f32_i32_e32 v147, v147                               // 00000000E56C: 7F260B93
	v_mul_f32_dpp v144, v24, v144 row_newbcast:4 row_mask:0xf bank_mask:0xf// 00000000E570: 0B2120FA FF015418
	v_mul_f32_dpp v145, v24, v145 row_newbcast:5 row_mask:0xf bank_mask:0xf// 00000000E578: 0B2322FA FF015518
	v_mul_f32_dpp v146, v24, v146 row_newbcast:6 row_mask:0xf bank_mask:0xf// 00000000E580: 0B2524FA FF015618
	v_mul_f32_dpp v147, v24, v147 row_newbcast:7 row_mask:0xf bank_mask:0xf// 00000000E588: 0B2726FA FF015718
	v_cvt_f32_i32_e32 v148, v148                               // 00000000E590: 7F280B94
	v_cvt_f32_i32_e32 v149, v149                               // 00000000E594: 7F2A0B95
	v_cvt_f32_i32_e32 v150, v150                               // 00000000E598: 7F2C0B96
	v_cvt_f32_i32_e32 v151, v151                               // 00000000E59C: 7F2E0B97
	v_mul_f32_dpp v148, v24, v148 row_newbcast:4 row_mask:0xf bank_mask:0xf// 00000000E5A0: 0B2928FA FF015418
	v_mul_f32_dpp v149, v24, v149 row_newbcast:5 row_mask:0xf bank_mask:0xf// 00000000E5A8: 0B2B2AFA FF015518
	v_mul_f32_dpp v150, v24, v150 row_newbcast:6 row_mask:0xf bank_mask:0xf// 00000000E5B0: 0B2D2CFA FF015618
	v_mul_f32_dpp v151, v24, v151 row_newbcast:7 row_mask:0xf bank_mask:0xf// 00000000E5B8: 0B2F2EFA FF015718
	v_cvt_f32_i32_e32 v152, v152                               // 00000000E5C0: 7F300B98
	v_cvt_f32_i32_e32 v153, v153                               // 00000000E5C4: 7F320B99
	v_cvt_f32_i32_e32 v154, v154                               // 00000000E5C8: 7F340B9A
	v_cvt_f32_i32_e32 v155, v155                               // 00000000E5CC: 7F360B9B
	v_mul_f32_dpp v152, v24, v152 row_newbcast:4 row_mask:0xf bank_mask:0xf// 00000000E5D0: 0B3130FA FF015418
	v_mul_f32_dpp v153, v24, v153 row_newbcast:5 row_mask:0xf bank_mask:0xf// 00000000E5D8: 0B3332FA FF015518
	v_mul_f32_dpp v154, v24, v154 row_newbcast:6 row_mask:0xf bank_mask:0xf// 00000000E5E0: 0B3534FA FF015618
	v_mul_f32_dpp v155, v24, v155 row_newbcast:7 row_mask:0xf bank_mask:0xf// 00000000E5E8: 0B3736FA FF015718
	v_cvt_f32_i32_e32 v156, v156                               // 00000000E5F0: 7F380B9C
	v_cvt_f32_i32_e32 v157, v157                               // 00000000E5F4: 7F3A0B9D
	v_cvt_f32_i32_e32 v158, v158                               // 00000000E5F8: 7F3C0B9E
	v_cvt_f32_i32_e32 v159, v159                               // 00000000E5FC: 7F3E0B9F
	v_mul_f32_dpp v156, v24, v156 row_newbcast:4 row_mask:0xf bank_mask:0xf// 00000000E600: 0B3938FA FF015418
	v_mul_f32_dpp v157, v24, v157 row_newbcast:5 row_mask:0xf bank_mask:0xf// 00000000E608: 0B3B3AFA FF015518
	v_mul_f32_dpp v158, v24, v158 row_newbcast:6 row_mask:0xf bank_mask:0xf// 00000000E610: 0B3D3CFA FF015618
	v_mul_f32_dpp v159, v24, v159 row_newbcast:7 row_mask:0xf bank_mask:0xf// 00000000E618: 0B3F3EFA FF015718
	v_cvt_f32_i32_e32 v160, v160                               // 00000000E620: 7F400BA0
	v_cvt_f32_i32_e32 v161, v161                               // 00000000E624: 7F420BA1
	v_cvt_f32_i32_e32 v162, v162                               // 00000000E628: 7F440BA2
	v_cvt_f32_i32_e32 v163, v163                               // 00000000E62C: 7F460BA3
	v_mul_f32_dpp v160, v27, v160 row_newbcast:0 row_mask:0xf bank_mask:0xf// 00000000E630: 0B4140FA FF01501B
	v_mul_f32_dpp v161, v27, v161 row_newbcast:1 row_mask:0xf bank_mask:0xf// 00000000E638: 0B4342FA FF01511B
	v_mul_f32_dpp v162, v27, v162 row_newbcast:2 row_mask:0xf bank_mask:0xf// 00000000E640: 0B4544FA FF01521B
	v_mul_f32_dpp v163, v27, v163 row_newbcast:3 row_mask:0xf bank_mask:0xf// 00000000E648: 0B4746FA FF01531B
	v_cvt_f32_i32_e32 v164, v164                               // 00000000E650: 7F480BA4
	v_cvt_f32_i32_e32 v165, v165                               // 00000000E654: 7F4A0BA5
	v_cvt_f32_i32_e32 v166, v166                               // 00000000E658: 7F4C0BA6
	v_cvt_f32_i32_e32 v167, v167                               // 00000000E65C: 7F4E0BA7
	v_mul_f32_dpp v164, v27, v164 row_newbcast:0 row_mask:0xf bank_mask:0xf// 00000000E660: 0B4948FA FF01501B
	v_mul_f32_dpp v165, v27, v165 row_newbcast:1 row_mask:0xf bank_mask:0xf// 00000000E668: 0B4B4AFA FF01511B
	v_mul_f32_dpp v166, v27, v166 row_newbcast:2 row_mask:0xf bank_mask:0xf// 00000000E670: 0B4D4CFA FF01521B
	v_mul_f32_dpp v167, v27, v167 row_newbcast:3 row_mask:0xf bank_mask:0xf// 00000000E678: 0B4F4EFA FF01531B
	v_cvt_f32_i32_e32 v168, v168                               // 00000000E680: 7F500BA8
	v_cvt_f32_i32_e32 v169, v169                               // 00000000E684: 7F520BA9
	v_cvt_f32_i32_e32 v170, v170                               // 00000000E688: 7F540BAA
	v_cvt_f32_i32_e32 v171, v171                               // 00000000E68C: 7F560BAB
	v_mul_f32_dpp v168, v27, v168 row_newbcast:0 row_mask:0xf bank_mask:0xf// 00000000E690: 0B5150FA FF01501B
	v_mul_f32_dpp v169, v27, v169 row_newbcast:1 row_mask:0xf bank_mask:0xf// 00000000E698: 0B5352FA FF01511B
	v_mul_f32_dpp v170, v27, v170 row_newbcast:2 row_mask:0xf bank_mask:0xf// 00000000E6A0: 0B5554FA FF01521B
	v_mul_f32_dpp v171, v27, v171 row_newbcast:3 row_mask:0xf bank_mask:0xf// 00000000E6A8: 0B5756FA FF01531B
	v_cvt_f32_i32_e32 v172, v172                               // 00000000E6B0: 7F580BAC
	v_cvt_f32_i32_e32 v173, v173                               // 00000000E6B4: 7F5A0BAD
	v_cvt_f32_i32_e32 v174, v174                               // 00000000E6B8: 7F5C0BAE
	v_cvt_f32_i32_e32 v175, v175                               // 00000000E6BC: 7F5E0BAF
	v_mul_f32_dpp v172, v27, v172 row_newbcast:0 row_mask:0xf bank_mask:0xf// 00000000E6C0: 0B5958FA FF01501B
	v_mul_f32_dpp v173, v27, v173 row_newbcast:1 row_mask:0xf bank_mask:0xf// 00000000E6C8: 0B5B5AFA FF01511B
	v_mul_f32_dpp v174, v27, v174 row_newbcast:2 row_mask:0xf bank_mask:0xf// 00000000E6D0: 0B5D5CFA FF01521B
	v_mul_f32_dpp v175, v27, v175 row_newbcast:3 row_mask:0xf bank_mask:0xf// 00000000E6D8: 0B5F5EFA FF01531B
	v_cvt_f32_i32_e32 v176, v176                               // 00000000E6E0: 7F600BB0
	v_cvt_f32_i32_e32 v177, v177                               // 00000000E6E4: 7F620BB1
	v_cvt_f32_i32_e32 v178, v178                               // 00000000E6E8: 7F640BB2
	v_cvt_f32_i32_e32 v179, v179                               // 00000000E6EC: 7F660BB3
	v_mul_f32_dpp v176, v27, v176 row_newbcast:0 row_mask:0xf bank_mask:0xf// 00000000E6F0: 0B6160FA FF01501B
	v_mul_f32_dpp v177, v27, v177 row_newbcast:1 row_mask:0xf bank_mask:0xf// 00000000E6F8: 0B6362FA FF01511B
	v_mul_f32_dpp v178, v27, v178 row_newbcast:2 row_mask:0xf bank_mask:0xf// 00000000E700: 0B6564FA FF01521B
	v_mul_f32_dpp v179, v27, v179 row_newbcast:3 row_mask:0xf bank_mask:0xf// 00000000E708: 0B6766FA FF01531B
	v_cvt_f32_i32_e32 v180, v180                               // 00000000E710: 7F680BB4
	v_cvt_f32_i32_e32 v181, v181                               // 00000000E714: 7F6A0BB5
	v_cvt_f32_i32_e32 v182, v182                               // 00000000E718: 7F6C0BB6
	v_cvt_f32_i32_e32 v183, v183                               // 00000000E71C: 7F6E0BB7
	v_mul_f32_dpp v180, v27, v180 row_newbcast:0 row_mask:0xf bank_mask:0xf// 00000000E720: 0B6968FA FF01501B
	v_mul_f32_dpp v181, v27, v181 row_newbcast:1 row_mask:0xf bank_mask:0xf// 00000000E728: 0B6B6AFA FF01511B
	v_mul_f32_dpp v182, v27, v182 row_newbcast:2 row_mask:0xf bank_mask:0xf// 00000000E730: 0B6D6CFA FF01521B
	v_mul_f32_dpp v183, v27, v183 row_newbcast:3 row_mask:0xf bank_mask:0xf// 00000000E738: 0B6F6EFA FF01531B
	v_cvt_f32_i32_e32 v184, v184                               // 00000000E740: 7F700BB8
	v_cvt_f32_i32_e32 v185, v185                               // 00000000E744: 7F720BB9
	v_cvt_f32_i32_e32 v186, v186                               // 00000000E748: 7F740BBA
	v_cvt_f32_i32_e32 v187, v187                               // 00000000E74C: 7F760BBB
	v_mul_f32_dpp v184, v27, v184 row_newbcast:0 row_mask:0xf bank_mask:0xf// 00000000E750: 0B7170FA FF01501B
	v_mul_f32_dpp v185, v27, v185 row_newbcast:1 row_mask:0xf bank_mask:0xf// 00000000E758: 0B7372FA FF01511B
	v_mul_f32_dpp v186, v27, v186 row_newbcast:2 row_mask:0xf bank_mask:0xf// 00000000E760: 0B7574FA FF01521B
	v_mul_f32_dpp v187, v27, v187 row_newbcast:3 row_mask:0xf bank_mask:0xf// 00000000E768: 0B7776FA FF01531B
	v_cvt_f32_i32_e32 v188, v188                               // 00000000E770: 7F780BBC
	v_cvt_f32_i32_e32 v189, v189                               // 00000000E774: 7F7A0BBD
	v_cvt_f32_i32_e32 v190, v190                               // 00000000E778: 7F7C0BBE
	v_cvt_f32_i32_e32 v191, v191                               // 00000000E77C: 7F7E0BBF
	v_mul_f32_dpp v188, v27, v188 row_newbcast:0 row_mask:0xf bank_mask:0xf// 00000000E780: 0B7978FA FF01501B
	v_mul_f32_dpp v189, v27, v189 row_newbcast:1 row_mask:0xf bank_mask:0xf// 00000000E788: 0B7B7AFA FF01511B
	v_mul_f32_dpp v190, v27, v190 row_newbcast:2 row_mask:0xf bank_mask:0xf// 00000000E790: 0B7D7CFA FF01521B
	v_mul_f32_dpp v191, v27, v191 row_newbcast:3 row_mask:0xf bank_mask:0xf// 00000000E798: 0B7F7EFA FF01531B
	v_cvt_f32_i32_e32 v192, v192                               // 00000000E7A0: 7F800BC0
	v_cvt_f32_i32_e32 v193, v193                               // 00000000E7A4: 7F820BC1
	v_cvt_f32_i32_e32 v194, v194                               // 00000000E7A8: 7F840BC2
	v_cvt_f32_i32_e32 v195, v195                               // 00000000E7AC: 7F860BC3
	v_mul_f32_dpp v192, v27, v192 row_newbcast:0 row_mask:0xf bank_mask:0xf// 00000000E7B0: 0B8180FA FF01501B
	v_mul_f32_dpp v193, v27, v193 row_newbcast:1 row_mask:0xf bank_mask:0xf// 00000000E7B8: 0B8382FA FF01511B
	v_mul_f32_dpp v194, v27, v194 row_newbcast:2 row_mask:0xf bank_mask:0xf// 00000000E7C0: 0B8584FA FF01521B
	v_mul_f32_dpp v195, v27, v195 row_newbcast:3 row_mask:0xf bank_mask:0xf// 00000000E7C8: 0B8786FA FF01531B
	v_cvt_f32_i32_e32 v196, v196                               // 00000000E7D0: 7F880BC4
	v_cvt_f32_i32_e32 v197, v197                               // 00000000E7D4: 7F8A0BC5
	v_cvt_f32_i32_e32 v198, v198                               // 00000000E7D8: 7F8C0BC6
	v_cvt_f32_i32_e32 v199, v199                               // 00000000E7DC: 7F8E0BC7
	v_mul_f32_dpp v196, v27, v196 row_newbcast:4 row_mask:0xf bank_mask:0xf// 00000000E7E0: 0B8988FA FF01541B
	v_mul_f32_dpp v197, v27, v197 row_newbcast:5 row_mask:0xf bank_mask:0xf// 00000000E7E8: 0B8B8AFA FF01551B
	v_mul_f32_dpp v198, v27, v198 row_newbcast:6 row_mask:0xf bank_mask:0xf// 00000000E7F0: 0B8D8CFA FF01561B
	v_mul_f32_dpp v199, v27, v199 row_newbcast:7 row_mask:0xf bank_mask:0xf// 00000000E7F8: 0B8F8EFA FF01571B
	v_cvt_f32_i32_e32 v200, v200                               // 00000000E800: 7F900BC8
	v_cvt_f32_i32_e32 v201, v201                               // 00000000E804: 7F920BC9
	v_cvt_f32_i32_e32 v202, v202                               // 00000000E808: 7F940BCA
	v_cvt_f32_i32_e32 v203, v203                               // 00000000E80C: 7F960BCB
	v_mul_f32_dpp v200, v27, v200 row_newbcast:4 row_mask:0xf bank_mask:0xf// 00000000E810: 0B9190FA FF01541B
	v_mul_f32_dpp v201, v27, v201 row_newbcast:5 row_mask:0xf bank_mask:0xf// 00000000E818: 0B9392FA FF01551B
	v_mul_f32_dpp v202, v27, v202 row_newbcast:6 row_mask:0xf bank_mask:0xf// 00000000E820: 0B9594FA FF01561B
	v_mul_f32_dpp v203, v27, v203 row_newbcast:7 row_mask:0xf bank_mask:0xf// 00000000E828: 0B9796FA FF01571B
	v_cvt_f32_i32_e32 v204, v204                               // 00000000E830: 7F980BCC
	v_cvt_f32_i32_e32 v205, v205                               // 00000000E834: 7F9A0BCD
	v_cvt_f32_i32_e32 v206, v206                               // 00000000E838: 7F9C0BCE
	v_cvt_f32_i32_e32 v207, v207                               // 00000000E83C: 7F9E0BCF
	v_mul_f32_dpp v204, v27, v204 row_newbcast:4 row_mask:0xf bank_mask:0xf// 00000000E840: 0B9998FA FF01541B
	v_mul_f32_dpp v205, v27, v205 row_newbcast:5 row_mask:0xf bank_mask:0xf// 00000000E848: 0B9B9AFA FF01551B
	v_mul_f32_dpp v206, v27, v206 row_newbcast:6 row_mask:0xf bank_mask:0xf// 00000000E850: 0B9D9CFA FF01561B
	v_mul_f32_dpp v207, v27, v207 row_newbcast:7 row_mask:0xf bank_mask:0xf// 00000000E858: 0B9F9EFA FF01571B
	v_cvt_f32_i32_e32 v208, v208                               // 00000000E860: 7FA00BD0
	v_cvt_f32_i32_e32 v209, v209                               // 00000000E864: 7FA20BD1
	v_cvt_f32_i32_e32 v210, v210                               // 00000000E868: 7FA40BD2
	v_cvt_f32_i32_e32 v211, v211                               // 00000000E86C: 7FA60BD3
	v_mul_f32_dpp v208, v27, v208 row_newbcast:4 row_mask:0xf bank_mask:0xf// 00000000E870: 0BA1A0FA FF01541B
	v_mul_f32_dpp v209, v27, v209 row_newbcast:5 row_mask:0xf bank_mask:0xf// 00000000E878: 0BA3A2FA FF01551B
	v_mul_f32_dpp v210, v27, v210 row_newbcast:6 row_mask:0xf bank_mask:0xf// 00000000E880: 0BA5A4FA FF01561B
	v_mul_f32_dpp v211, v27, v211 row_newbcast:7 row_mask:0xf bank_mask:0xf// 00000000E888: 0BA7A6FA FF01571B
	v_cvt_f32_i32_e32 v212, v212                               // 00000000E890: 7FA80BD4
	v_cvt_f32_i32_e32 v213, v213                               // 00000000E894: 7FAA0BD5
	v_cvt_f32_i32_e32 v214, v214                               // 00000000E898: 7FAC0BD6
	v_cvt_f32_i32_e32 v215, v215                               // 00000000E89C: 7FAE0BD7
	v_mul_f32_dpp v212, v27, v212 row_newbcast:4 row_mask:0xf bank_mask:0xf// 00000000E8A0: 0BA9A8FA FF01541B
	v_mul_f32_dpp v213, v27, v213 row_newbcast:5 row_mask:0xf bank_mask:0xf// 00000000E8A8: 0BABAAFA FF01551B
	v_mul_f32_dpp v214, v27, v214 row_newbcast:6 row_mask:0xf bank_mask:0xf// 00000000E8B0: 0BADACFA FF01561B
	v_mul_f32_dpp v215, v27, v215 row_newbcast:7 row_mask:0xf bank_mask:0xf// 00000000E8B8: 0BAFAEFA FF01571B
	v_cvt_f32_i32_e32 v216, v216                               // 00000000E8C0: 7FB00BD8
	v_cvt_f32_i32_e32 v217, v217                               // 00000000E8C4: 7FB20BD9
	v_cvt_f32_i32_e32 v218, v218                               // 00000000E8C8: 7FB40BDA
	v_cvt_f32_i32_e32 v219, v219                               // 00000000E8CC: 7FB60BDB
	v_mul_f32_dpp v216, v27, v216 row_newbcast:4 row_mask:0xf bank_mask:0xf// 00000000E8D0: 0BB1B0FA FF01541B
	v_mul_f32_dpp v217, v27, v217 row_newbcast:5 row_mask:0xf bank_mask:0xf// 00000000E8D8: 0BB3B2FA FF01551B
	v_mul_f32_dpp v218, v27, v218 row_newbcast:6 row_mask:0xf bank_mask:0xf// 00000000E8E0: 0BB5B4FA FF01561B
	v_mul_f32_dpp v219, v27, v219 row_newbcast:7 row_mask:0xf bank_mask:0xf// 00000000E8E8: 0BB7B6FA FF01571B
	v_cvt_f32_i32_e32 v220, v220                               // 00000000E8F0: 7FB80BDC
	v_cvt_f32_i32_e32 v221, v221                               // 00000000E8F4: 7FBA0BDD
	v_cvt_f32_i32_e32 v222, v222                               // 00000000E8F8: 7FBC0BDE
	v_cvt_f32_i32_e32 v223, v223                               // 00000000E8FC: 7FBE0BDF
	v_mul_f32_dpp v220, v27, v220 row_newbcast:4 row_mask:0xf bank_mask:0xf// 00000000E900: 0BB9B8FA FF01541B
	v_mul_f32_dpp v221, v27, v221 row_newbcast:5 row_mask:0xf bank_mask:0xf// 00000000E908: 0BBBBAFA FF01551B
	v_mul_f32_dpp v222, v27, v222 row_newbcast:6 row_mask:0xf bank_mask:0xf// 00000000E910: 0BBDBCFA FF01561B
	v_mul_f32_dpp v223, v27, v223 row_newbcast:7 row_mask:0xf bank_mask:0xf// 00000000E918: 0BBFBEFA FF01571B
	v_cvt_f32_i32_e32 v224, v224                               // 00000000E920: 7FC00BE0
	v_cvt_f32_i32_e32 v225, v225                               // 00000000E924: 7FC20BE1
	v_cvt_f32_i32_e32 v226, v226                               // 00000000E928: 7FC40BE2
	v_cvt_f32_i32_e32 v227, v227                               // 00000000E92C: 7FC60BE3
	v_mul_f32_dpp v224, v27, v224 row_newbcast:4 row_mask:0xf bank_mask:0xf// 00000000E930: 0BC1C0FA FF01541B
	v_mul_f32_dpp v225, v27, v225 row_newbcast:5 row_mask:0xf bank_mask:0xf// 00000000E938: 0BC3C2FA FF01551B
	v_mul_f32_dpp v226, v27, v226 row_newbcast:6 row_mask:0xf bank_mask:0xf// 00000000E940: 0BC5C4FA FF01561B
	v_mul_f32_dpp v227, v27, v227 row_newbcast:7 row_mask:0xf bank_mask:0xf// 00000000E948: 0BC7C6FA FF01571B
	v_cvt_f32_i32_e32 v228, v228                               // 00000000E950: 7FC80BE4
	v_cvt_f32_i32_e32 v229, v229                               // 00000000E954: 7FCA0BE5
	v_cvt_f32_i32_e32 v230, v230                               // 00000000E958: 7FCC0BE6
	v_cvt_f32_i32_e32 v231, v231                               // 00000000E95C: 7FCE0BE7
	v_mul_f32_dpp v228, v27, v228 row_newbcast:4 row_mask:0xf bank_mask:0xf// 00000000E960: 0BC9C8FA FF01541B
	v_mul_f32_dpp v229, v27, v229 row_newbcast:5 row_mask:0xf bank_mask:0xf// 00000000E968: 0BCBCAFA FF01551B
	v_mul_f32_dpp v230, v27, v230 row_newbcast:6 row_mask:0xf bank_mask:0xf// 00000000E970: 0BCDCCFA FF01561B
	v_mul_f32_dpp v231, v27, v231 row_newbcast:7 row_mask:0xf bank_mask:0xf// 00000000E978: 0BCFCEFA FF01571B
	v_mov_b32_e32 v4, v39                                      // 00000000E980: 7E080327
	v_mov_b32_e32 v5, v4                                       // 00000000E984: 7E0A0304
	v_pk_mul_f32 v[88:89], v[4:5], v[88:89]                    // 00000000E988: D3B14058 1802B104
	v_pk_mul_f32 v[160:161], v[4:5], v[160:161]                // 00000000E990: D3B140A0 18034104
	v_pk_mul_f32 v[90:91], v[4:5], v[90:91]                    // 00000000E998: D3B1405A 1802B504
	v_pk_mul_f32 v[162:163], v[4:5], v[162:163]                // 00000000E9A0: D3B140A2 18034504
	v_pk_mul_f32 v[124:125], v[4:5], v[124:125]                // 00000000E9A8: D3B1407C 1802F904
	v_pk_mul_f32 v[196:197], v[4:5], v[196:197]                // 00000000E9B0: D3B140C4 18038904
	v_pk_mul_f32 v[126:127], v[4:5], v[126:127]                // 00000000E9B8: D3B1407E 1802FD04
	v_pk_mul_f32 v[198:199], v[4:5], v[198:199]                // 00000000E9C0: D3B140C6 18038D04
	v_mov_b32_e32 v4, v40                                      // 00000000E9C8: 7E080328
	v_mov_b32_e32 v5, v4                                       // 00000000E9CC: 7E0A0304
	v_pk_mul_f32 v[92:93], v[4:5], v[92:93]                    // 00000000E9D0: D3B1405C 1802B904
	v_pk_mul_f32 v[164:165], v[4:5], v[164:165]                // 00000000E9D8: D3B140A4 18034904
	v_pk_mul_f32 v[94:95], v[4:5], v[94:95]                    // 00000000E9E0: D3B1405E 1802BD04
	v_pk_mul_f32 v[166:167], v[4:5], v[166:167]                // 00000000E9E8: D3B140A6 18034D04
	v_pk_mul_f32 v[128:129], v[4:5], v[128:129]                // 00000000E9F0: D3B14080 18030104
	v_pk_mul_f32 v[200:201], v[4:5], v[200:201]                // 00000000E9F8: D3B140C8 18039104
	v_pk_mul_f32 v[130:131], v[4:5], v[130:131]                // 00000000EA00: D3B14082 18030504
	v_pk_mul_f32 v[202:203], v[4:5], v[202:203]                // 00000000EA08: D3B140CA 18039504
	v_mov_b32_e32 v4, v41                                      // 00000000EA10: 7E080329
	v_mov_b32_e32 v5, v4                                       // 00000000EA14: 7E0A0304
	v_pk_mul_f32 v[96:97], v[4:5], v[96:97]                    // 00000000EA18: D3B14060 1802C104
	v_pk_mul_f32 v[168:169], v[4:5], v[168:169]                // 00000000EA20: D3B140A8 18035104
	v_pk_mul_f32 v[98:99], v[4:5], v[98:99]                    // 00000000EA28: D3B14062 1802C504
	v_pk_mul_f32 v[170:171], v[4:5], v[170:171]                // 00000000EA30: D3B140AA 18035504
	v_pk_mul_f32 v[132:133], v[4:5], v[132:133]                // 00000000EA38: D3B14084 18030904
	v_pk_mul_f32 v[204:205], v[4:5], v[204:205]                // 00000000EA40: D3B140CC 18039904
	v_pk_mul_f32 v[134:135], v[4:5], v[134:135]                // 00000000EA48: D3B14086 18030D04
	v_pk_mul_f32 v[206:207], v[4:5], v[206:207]                // 00000000EA50: D3B140CE 18039D04
	v_mov_b32_e32 v4, v42                                      // 00000000EA58: 7E08032A
	v_mov_b32_e32 v5, v4                                       // 00000000EA5C: 7E0A0304
	v_pk_mul_f32 v[100:101], v[4:5], v[100:101]                // 00000000EA60: D3B14064 1802C904
	v_pk_mul_f32 v[172:173], v[4:5], v[172:173]                // 00000000EA68: D3B140AC 18035904
	v_pk_mul_f32 v[102:103], v[4:5], v[102:103]                // 00000000EA70: D3B14066 1802CD04
	v_pk_mul_f32 v[174:175], v[4:5], v[174:175]                // 00000000EA78: D3B140AE 18035D04
	v_pk_mul_f32 v[136:137], v[4:5], v[136:137]                // 00000000EA80: D3B14088 18031104
	v_pk_mul_f32 v[208:209], v[4:5], v[208:209]                // 00000000EA88: D3B140D0 1803A104
	v_pk_mul_f32 v[138:139], v[4:5], v[138:139]                // 00000000EA90: D3B1408A 18031504
	v_pk_mul_f32 v[210:211], v[4:5], v[210:211]                // 00000000EA98: D3B140D2 1803A504
	v_mov_b32_e32 v4, v43                                      // 00000000EAA0: 7E08032B
	v_mov_b32_e32 v5, v4                                       // 00000000EAA4: 7E0A0304
	v_pk_mul_f32 v[104:105], v[4:5], v[104:105]                // 00000000EAA8: D3B14068 1802D104
	v_pk_mul_f32 v[176:177], v[4:5], v[176:177]                // 00000000EAB0: D3B140B0 18036104
	v_pk_mul_f32 v[106:107], v[4:5], v[106:107]                // 00000000EAB8: D3B1406A 1802D504
	v_pk_mul_f32 v[178:179], v[4:5], v[178:179]                // 00000000EAC0: D3B140B2 18036504
	v_pk_mul_f32 v[140:141], v[4:5], v[140:141]                // 00000000EAC8: D3B1408C 18031904
	v_pk_mul_f32 v[212:213], v[4:5], v[212:213]                // 00000000EAD0: D3B140D4 1803A904
	v_pk_mul_f32 v[142:143], v[4:5], v[142:143]                // 00000000EAD8: D3B1408E 18031D04
	v_pk_mul_f32 v[214:215], v[4:5], v[214:215]                // 00000000EAE0: D3B140D6 1803AD04
	v_mov_b32_e32 v4, v44                                      // 00000000EAE8: 7E08032C
	v_mov_b32_e32 v5, v4                                       // 00000000EAEC: 7E0A0304
	v_pk_mul_f32 v[108:109], v[4:5], v[108:109]                // 00000000EAF0: D3B1406C 1802D904
	v_pk_mul_f32 v[180:181], v[4:5], v[180:181]                // 00000000EAF8: D3B140B4 18036904
	v_pk_mul_f32 v[110:111], v[4:5], v[110:111]                // 00000000EB00: D3B1406E 1802DD04
	v_pk_mul_f32 v[182:183], v[4:5], v[182:183]                // 00000000EB08: D3B140B6 18036D04
	v_pk_mul_f32 v[144:145], v[4:5], v[144:145]                // 00000000EB10: D3B14090 18032104
	v_pk_mul_f32 v[216:217], v[4:5], v[216:217]                // 00000000EB18: D3B140D8 1803B104
	v_pk_mul_f32 v[146:147], v[4:5], v[146:147]                // 00000000EB20: D3B14092 18032504
	v_pk_mul_f32 v[218:219], v[4:5], v[218:219]                // 00000000EB28: D3B140DA 1803B504
	v_mov_b32_e32 v4, v45                                      // 00000000EB30: 7E08032D
	v_mov_b32_e32 v5, v4                                       // 00000000EB34: 7E0A0304
	v_pk_mul_f32 v[112:113], v[4:5], v[112:113]                // 00000000EB38: D3B14070 1802E104
	v_pk_mul_f32 v[184:185], v[4:5], v[184:185]                // 00000000EB40: D3B140B8 18037104
	v_pk_mul_f32 v[114:115], v[4:5], v[114:115]                // 00000000EB48: D3B14072 1802E504
	v_pk_mul_f32 v[186:187], v[4:5], v[186:187]                // 00000000EB50: D3B140BA 18037504
	v_pk_mul_f32 v[148:149], v[4:5], v[148:149]                // 00000000EB58: D3B14094 18032904
	v_pk_mul_f32 v[220:221], v[4:5], v[220:221]                // 00000000EB60: D3B140DC 1803B904
	v_pk_mul_f32 v[150:151], v[4:5], v[150:151]                // 00000000EB68: D3B14096 18032D04
	v_pk_mul_f32 v[222:223], v[4:5], v[222:223]                // 00000000EB70: D3B140DE 1803BD04
	v_mov_b32_e32 v4, v46                                      // 00000000EB78: 7E08032E
	v_mov_b32_e32 v5, v4                                       // 00000000EB7C: 7E0A0304
	v_pk_mul_f32 v[116:117], v[4:5], v[116:117]                // 00000000EB80: D3B14074 1802E904
	v_pk_mul_f32 v[188:189], v[4:5], v[188:189]                // 00000000EB88: D3B140BC 18037904
	v_pk_mul_f32 v[118:119], v[4:5], v[118:119]                // 00000000EB90: D3B14076 1802ED04
	v_pk_mul_f32 v[190:191], v[4:5], v[190:191]                // 00000000EB98: D3B140BE 18037D04
	v_pk_mul_f32 v[152:153], v[4:5], v[152:153]                // 00000000EBA0: D3B14098 18033104
	v_pk_mul_f32 v[224:225], v[4:5], v[224:225]                // 00000000EBA8: D3B140E0 1803C104
	v_pk_mul_f32 v[154:155], v[4:5], v[154:155]                // 00000000EBB0: D3B1409A 18033504
	v_pk_mul_f32 v[226:227], v[4:5], v[226:227]                // 00000000EBB8: D3B140E2 1803C504
	v_mov_b32_e32 v4, v47                                      // 00000000EBC0: 7E08032F
	v_mov_b32_e32 v5, v4                                       // 00000000EBC4: 7E0A0304
	v_pk_mul_f32 v[120:121], v[4:5], v[120:121]                // 00000000EBC8: D3B14078 1802F104
	v_pk_mul_f32 v[192:193], v[4:5], v[192:193]                // 00000000EBD0: D3B140C0 18038104
	v_pk_mul_f32 v[122:123], v[4:5], v[122:123]                // 00000000EBD8: D3B1407A 1802F504
	v_pk_mul_f32 v[194:195], v[4:5], v[194:195]                // 00000000EBE0: D3B140C2 18038504
	v_pk_mul_f32 v[156:157], v[4:5], v[156:157]                // 00000000EBE8: D3B1409C 18033904
	v_pk_mul_f32 v[228:229], v[4:5], v[228:229]                // 00000000EBF0: D3B140E4 1803C904
	v_pk_mul_f32 v[158:159], v[4:5], v[158:159]                // 00000000EBF8: D3B1409E 18033D04
	v_pk_mul_f32 v[230:231], v[4:5], v[230:231]                // 00000000EC00: D3B140E6 1803CD04
	s_cmp_eq_u32 s88, 0                                        // 00000000EC08: BF068058
	s_cbranch_scc0 label_3B10                                  // 00000000EC0C: BF840A89
	s_cmp_eq_u32 s89, 0                                        // 00000000EC10: BF068059
	s_cbranch_scc1 label_335E                                  // 00000000EC14: BF8502D5
	v_mov_b32_e32 v8, v1                                       // 00000000EC18: 7E100301
	v_mov_b32_e32 v9, v1                                       // 00000000EC1C: 7E120301
	s_mov_b32 s60, s6                                          // 00000000EC20: BEBC0006
	s_mov_b32 s61, s6                                          // 00000000EC24: BEBD0006
	v_pk_mul_f32 v[4:5], v[88:89], v[88:89]                    // 00000000EC28: D3B14004 1802B158
	v_pk_mul_f32 v[6:7], v[90:91], v[90:91]                    // 00000000EC30: D3B14006 1802B55A
	v_pk_fma_f32 v[4:5], v[4:5], s[78:79], v[8:9]              // 00000000EC38: D3B04004 1C209D04
	v_pk_fma_f32 v[6:7], v[6:7], s[78:79], v[8:9]              // 00000000EC40: D3B04006 1C209D06
	v_pk_mul_f32 v[4:5], v[4:5], v[88:89]                      // 00000000EC48: D3B14004 1802B104
	v_pk_mul_f32 v[6:7], v[6:7], v[90:91]                      // 00000000EC50: D3B14006 1802B506
	v_pk_mul_f32 v[4:5], v[4:5], s[60:61]                      // 00000000EC58: D3B14004 18007904
	v_pk_mul_f32 v[6:7], v[6:7], s[60:61]                      // 00000000EC60: D3B14006 18007906
	v_exp_f32_e32 v4, v4                                       // 00000000EC68: 7E084104
	v_exp_f32_e32 v5, v5                                       // 00000000EC6C: 7E0A4105
	v_exp_f32_e32 v6, v6                                       // 00000000EC70: 7E0C4106
	v_exp_f32_e32 v7, v7                                       // 00000000EC74: 7E0E4107
	v_add_f32_e64 v4, v4, 1.0                                  // 00000000EC78: D1010004 0001E504
	v_add_f32_e64 v5, v5, 1.0                                  // 00000000EC80: D1010005 0001E505
	v_add_f32_e64 v6, v6, 1.0                                  // 00000000EC88: D1010006 0001E506
	v_add_f32_e64 v7, v7, 1.0                                  // 00000000EC90: D1010007 0001E507
	v_rcp_f32_e32 v4, v4                                       // 00000000EC98: 7E084504
	v_rcp_f32_e32 v5, v5                                       // 00000000EC9C: 7E0A4505
	v_rcp_f32_e32 v6, v6                                       // 00000000ECA0: 7E0C4506
	v_rcp_f32_e32 v7, v7                                       // 00000000ECA4: 7E0E4507
	v_mul_f32_e32 v88, v88, v4                                 // 00000000ECA8: 0AB00958
	v_mul_f32_e32 v89, v89, v5                                 // 00000000ECAC: 0AB20B59
	v_mul_f32_e32 v90, v90, v6                                 // 00000000ECB0: 0AB40D5A
	v_mul_f32_e32 v91, v91, v7                                 // 00000000ECB4: 0AB60F5B
	v_mul_f32_e32 v88, v88, v160                               // 00000000ECB8: 0AB14158
	v_mul_f32_e32 v89, v89, v161                               // 00000000ECBC: 0AB34359
	v_mul_f32_e32 v90, v90, v162                               // 00000000ECC0: 0AB5455A
	v_mul_f32_e32 v91, v91, v163                               // 00000000ECC4: 0AB7475B
	v_pk_mul_f32 v[4:5], v[92:93], v[92:93]                    // 00000000ECC8: D3B14004 1802B95C
	v_pk_mul_f32 v[6:7], v[94:95], v[94:95]                    // 00000000ECD0: D3B14006 1802BD5E
	v_pk_fma_f32 v[4:5], v[4:5], s[78:79], v[8:9]              // 00000000ECD8: D3B04004 1C209D04
	v_pk_fma_f32 v[6:7], v[6:7], s[78:79], v[8:9]              // 00000000ECE0: D3B04006 1C209D06
	v_pk_mul_f32 v[4:5], v[4:5], v[92:93]                      // 00000000ECE8: D3B14004 1802B904
	v_pk_mul_f32 v[6:7], v[6:7], v[94:95]                      // 00000000ECF0: D3B14006 1802BD06
	v_pk_mul_f32 v[4:5], v[4:5], s[60:61]                      // 00000000ECF8: D3B14004 18007904
	v_pk_mul_f32 v[6:7], v[6:7], s[60:61]                      // 00000000ED00: D3B14006 18007906
	v_exp_f32_e32 v4, v4                                       // 00000000ED08: 7E084104
	v_exp_f32_e32 v5, v5                                       // 00000000ED0C: 7E0A4105
	v_exp_f32_e32 v6, v6                                       // 00000000ED10: 7E0C4106
	v_exp_f32_e32 v7, v7                                       // 00000000ED14: 7E0E4107
	v_add_f32_e64 v4, v4, 1.0                                  // 00000000ED18: D1010004 0001E504
	v_add_f32_e64 v5, v5, 1.0                                  // 00000000ED20: D1010005 0001E505
	v_add_f32_e64 v6, v6, 1.0                                  // 00000000ED28: D1010006 0001E506
	v_add_f32_e64 v7, v7, 1.0                                  // 00000000ED30: D1010007 0001E507
	v_rcp_f32_e32 v4, v4                                       // 00000000ED38: 7E084504
	v_rcp_f32_e32 v5, v5                                       // 00000000ED3C: 7E0A4505
	v_rcp_f32_e32 v6, v6                                       // 00000000ED40: 7E0C4506
	v_rcp_f32_e32 v7, v7                                       // 00000000ED44: 7E0E4507
	v_mul_f32_e32 v92, v92, v4                                 // 00000000ED48: 0AB8095C
	v_mul_f32_e32 v93, v93, v5                                 // 00000000ED4C: 0ABA0B5D
	v_mul_f32_e32 v94, v94, v6                                 // 00000000ED50: 0ABC0D5E
	v_mul_f32_e32 v95, v95, v7                                 // 00000000ED54: 0ABE0F5F
	v_mul_f32_e32 v92, v92, v164                               // 00000000ED58: 0AB9495C
	v_mul_f32_e32 v93, v93, v165                               // 00000000ED5C: 0ABB4B5D
	v_mul_f32_e32 v94, v94, v166                               // 00000000ED60: 0ABD4D5E
	v_mul_f32_e32 v95, v95, v167                               // 00000000ED64: 0ABF4F5F
	v_pk_mul_f32 v[4:5], v[96:97], v[96:97]                    // 00000000ED68: D3B14004 1802C160
	v_pk_mul_f32 v[6:7], v[98:99], v[98:99]                    // 00000000ED70: D3B14006 1802C562
	v_pk_fma_f32 v[4:5], v[4:5], s[78:79], v[8:9]              // 00000000ED78: D3B04004 1C209D04
	v_pk_fma_f32 v[6:7], v[6:7], s[78:79], v[8:9]              // 00000000ED80: D3B04006 1C209D06
	v_pk_mul_f32 v[4:5], v[4:5], v[96:97]                      // 00000000ED88: D3B14004 1802C104
	v_pk_mul_f32 v[6:7], v[6:7], v[98:99]                      // 00000000ED90: D3B14006 1802C506
	v_pk_mul_f32 v[4:5], v[4:5], s[60:61]                      // 00000000ED98: D3B14004 18007904
	v_pk_mul_f32 v[6:7], v[6:7], s[60:61]                      // 00000000EDA0: D3B14006 18007906
	v_exp_f32_e32 v4, v4                                       // 00000000EDA8: 7E084104
	v_exp_f32_e32 v5, v5                                       // 00000000EDAC: 7E0A4105
	v_exp_f32_e32 v6, v6                                       // 00000000EDB0: 7E0C4106
	v_exp_f32_e32 v7, v7                                       // 00000000EDB4: 7E0E4107
	v_add_f32_e64 v4, v4, 1.0                                  // 00000000EDB8: D1010004 0001E504
	v_add_f32_e64 v5, v5, 1.0                                  // 00000000EDC0: D1010005 0001E505
	v_add_f32_e64 v6, v6, 1.0                                  // 00000000EDC8: D1010006 0001E506
	v_add_f32_e64 v7, v7, 1.0                                  // 00000000EDD0: D1010007 0001E507
	v_rcp_f32_e32 v4, v4                                       // 00000000EDD8: 7E084504
	v_rcp_f32_e32 v5, v5                                       // 00000000EDDC: 7E0A4505
	v_rcp_f32_e32 v6, v6                                       // 00000000EDE0: 7E0C4506
	v_rcp_f32_e32 v7, v7                                       // 00000000EDE4: 7E0E4507
	v_mul_f32_e32 v96, v96, v4                                 // 00000000EDE8: 0AC00960
	v_mul_f32_e32 v97, v97, v5                                 // 00000000EDEC: 0AC20B61
	v_mul_f32_e32 v98, v98, v6                                 // 00000000EDF0: 0AC40D62
	v_mul_f32_e32 v99, v99, v7                                 // 00000000EDF4: 0AC60F63
	v_mul_f32_e32 v96, v96, v168                               // 00000000EDF8: 0AC15160
	v_mul_f32_e32 v97, v97, v169                               // 00000000EDFC: 0AC35361
	v_mul_f32_e32 v98, v98, v170                               // 00000000EE00: 0AC55562
	v_mul_f32_e32 v99, v99, v171                               // 00000000EE04: 0AC75763
	v_pk_mul_f32 v[4:5], v[100:101], v[100:101]                // 00000000EE08: D3B14004 1802C964
	v_pk_mul_f32 v[6:7], v[102:103], v[102:103]                // 00000000EE10: D3B14006 1802CD66
	v_pk_fma_f32 v[4:5], v[4:5], s[78:79], v[8:9]              // 00000000EE18: D3B04004 1C209D04
	v_pk_fma_f32 v[6:7], v[6:7], s[78:79], v[8:9]              // 00000000EE20: D3B04006 1C209D06
	v_pk_mul_f32 v[4:5], v[4:5], v[100:101]                    // 00000000EE28: D3B14004 1802C904
	v_pk_mul_f32 v[6:7], v[6:7], v[102:103]                    // 00000000EE30: D3B14006 1802CD06
	v_pk_mul_f32 v[4:5], v[4:5], s[60:61]                      // 00000000EE38: D3B14004 18007904
	v_pk_mul_f32 v[6:7], v[6:7], s[60:61]                      // 00000000EE40: D3B14006 18007906
	v_exp_f32_e32 v4, v4                                       // 00000000EE48: 7E084104
	v_exp_f32_e32 v5, v5                                       // 00000000EE4C: 7E0A4105
	v_exp_f32_e32 v6, v6                                       // 00000000EE50: 7E0C4106
	v_exp_f32_e32 v7, v7                                       // 00000000EE54: 7E0E4107
	v_add_f32_e64 v4, v4, 1.0                                  // 00000000EE58: D1010004 0001E504
	v_add_f32_e64 v5, v5, 1.0                                  // 00000000EE60: D1010005 0001E505
	v_add_f32_e64 v6, v6, 1.0                                  // 00000000EE68: D1010006 0001E506
	v_add_f32_e64 v7, v7, 1.0                                  // 00000000EE70: D1010007 0001E507
	v_rcp_f32_e32 v4, v4                                       // 00000000EE78: 7E084504
	v_rcp_f32_e32 v5, v5                                       // 00000000EE7C: 7E0A4505
	v_rcp_f32_e32 v6, v6                                       // 00000000EE80: 7E0C4506
	v_rcp_f32_e32 v7, v7                                       // 00000000EE84: 7E0E4507
	v_mul_f32_e32 v100, v100, v4                               // 00000000EE88: 0AC80964
	v_mul_f32_e32 v101, v101, v5                               // 00000000EE8C: 0ACA0B65
	v_mul_f32_e32 v102, v102, v6                               // 00000000EE90: 0ACC0D66
	v_mul_f32_e32 v103, v103, v7                               // 00000000EE94: 0ACE0F67
	v_mul_f32_e32 v100, v100, v172                             // 00000000EE98: 0AC95964
	v_mul_f32_e32 v101, v101, v173                             // 00000000EE9C: 0ACB5B65
	v_mul_f32_e32 v102, v102, v174                             // 00000000EEA0: 0ACD5D66
	v_mul_f32_e32 v103, v103, v175                             // 00000000EEA4: 0ACF5F67
	v_pk_mul_f32 v[4:5], v[104:105], v[104:105]                // 00000000EEA8: D3B14004 1802D168
	v_pk_mul_f32 v[6:7], v[106:107], v[106:107]                // 00000000EEB0: D3B14006 1802D56A
	v_pk_fma_f32 v[4:5], v[4:5], s[78:79], v[8:9]              // 00000000EEB8: D3B04004 1C209D04
	v_pk_fma_f32 v[6:7], v[6:7], s[78:79], v[8:9]              // 00000000EEC0: D3B04006 1C209D06
	v_pk_mul_f32 v[4:5], v[4:5], v[104:105]                    // 00000000EEC8: D3B14004 1802D104
	v_pk_mul_f32 v[6:7], v[6:7], v[106:107]                    // 00000000EED0: D3B14006 1802D506
	v_pk_mul_f32 v[4:5], v[4:5], s[60:61]                      // 00000000EED8: D3B14004 18007904
	v_pk_mul_f32 v[6:7], v[6:7], s[60:61]                      // 00000000EEE0: D3B14006 18007906
	v_exp_f32_e32 v4, v4                                       // 00000000EEE8: 7E084104
	v_exp_f32_e32 v5, v5                                       // 00000000EEEC: 7E0A4105
	v_exp_f32_e32 v6, v6                                       // 00000000EEF0: 7E0C4106
	v_exp_f32_e32 v7, v7                                       // 00000000EEF4: 7E0E4107
	v_add_f32_e64 v4, v4, 1.0                                  // 00000000EEF8: D1010004 0001E504
	v_add_f32_e64 v5, v5, 1.0                                  // 00000000EF00: D1010005 0001E505
	v_add_f32_e64 v6, v6, 1.0                                  // 00000000EF08: D1010006 0001E506
	v_add_f32_e64 v7, v7, 1.0                                  // 00000000EF10: D1010007 0001E507
	v_rcp_f32_e32 v4, v4                                       // 00000000EF18: 7E084504
	v_rcp_f32_e32 v5, v5                                       // 00000000EF1C: 7E0A4505
	v_rcp_f32_e32 v6, v6                                       // 00000000EF20: 7E0C4506
	v_rcp_f32_e32 v7, v7                                       // 00000000EF24: 7E0E4507
	v_mul_f32_e32 v104, v104, v4                               // 00000000EF28: 0AD00968
	v_mul_f32_e32 v105, v105, v5                               // 00000000EF2C: 0AD20B69
	v_mul_f32_e32 v106, v106, v6                               // 00000000EF30: 0AD40D6A
	v_mul_f32_e32 v107, v107, v7                               // 00000000EF34: 0AD60F6B
	v_mul_f32_e32 v104, v104, v176                             // 00000000EF38: 0AD16168
	v_mul_f32_e32 v105, v105, v177                             // 00000000EF3C: 0AD36369
	v_mul_f32_e32 v106, v106, v178                             // 00000000EF40: 0AD5656A
	v_mul_f32_e32 v107, v107, v179                             // 00000000EF44: 0AD7676B
	v_pk_mul_f32 v[4:5], v[108:109], v[108:109]                // 00000000EF48: D3B14004 1802D96C
	v_pk_mul_f32 v[6:7], v[110:111], v[110:111]                // 00000000EF50: D3B14006 1802DD6E
	v_pk_fma_f32 v[4:5], v[4:5], s[78:79], v[8:9]              // 00000000EF58: D3B04004 1C209D04
	v_pk_fma_f32 v[6:7], v[6:7], s[78:79], v[8:9]              // 00000000EF60: D3B04006 1C209D06
	v_pk_mul_f32 v[4:5], v[4:5], v[108:109]                    // 00000000EF68: D3B14004 1802D904
	v_pk_mul_f32 v[6:7], v[6:7], v[110:111]                    // 00000000EF70: D3B14006 1802DD06
	v_pk_mul_f32 v[4:5], v[4:5], s[60:61]                      // 00000000EF78: D3B14004 18007904
	v_pk_mul_f32 v[6:7], v[6:7], s[60:61]                      // 00000000EF80: D3B14006 18007906
	v_exp_f32_e32 v4, v4                                       // 00000000EF88: 7E084104
	v_exp_f32_e32 v5, v5                                       // 00000000EF8C: 7E0A4105
	v_exp_f32_e32 v6, v6                                       // 00000000EF90: 7E0C4106
	v_exp_f32_e32 v7, v7                                       // 00000000EF94: 7E0E4107
	v_add_f32_e64 v4, v4, 1.0                                  // 00000000EF98: D1010004 0001E504
	v_add_f32_e64 v5, v5, 1.0                                  // 00000000EFA0: D1010005 0001E505
	v_add_f32_e64 v6, v6, 1.0                                  // 00000000EFA8: D1010006 0001E506
	v_add_f32_e64 v7, v7, 1.0                                  // 00000000EFB0: D1010007 0001E507
	v_rcp_f32_e32 v4, v4                                       // 00000000EFB8: 7E084504
	v_rcp_f32_e32 v5, v5                                       // 00000000EFBC: 7E0A4505
	v_rcp_f32_e32 v6, v6                                       // 00000000EFC0: 7E0C4506
	v_rcp_f32_e32 v7, v7                                       // 00000000EFC4: 7E0E4507
	v_mul_f32_e32 v108, v108, v4                               // 00000000EFC8: 0AD8096C
	v_mul_f32_e32 v109, v109, v5                               // 00000000EFCC: 0ADA0B6D
	v_mul_f32_e32 v110, v110, v6                               // 00000000EFD0: 0ADC0D6E
	v_mul_f32_e32 v111, v111, v7                               // 00000000EFD4: 0ADE0F6F
	v_mul_f32_e32 v108, v108, v180                             // 00000000EFD8: 0AD9696C
	v_mul_f32_e32 v109, v109, v181                             // 00000000EFDC: 0ADB6B6D
	v_mul_f32_e32 v110, v110, v182                             // 00000000EFE0: 0ADD6D6E
	v_mul_f32_e32 v111, v111, v183                             // 00000000EFE4: 0ADF6F6F
	v_pk_mul_f32 v[4:5], v[112:113], v[112:113]                // 00000000EFE8: D3B14004 1802E170
	v_pk_mul_f32 v[6:7], v[114:115], v[114:115]                // 00000000EFF0: D3B14006 1802E572
	v_pk_fma_f32 v[4:5], v[4:5], s[78:79], v[8:9]              // 00000000EFF8: D3B04004 1C209D04
	v_pk_fma_f32 v[6:7], v[6:7], s[78:79], v[8:9]              // 00000000F000: D3B04006 1C209D06
	v_pk_mul_f32 v[4:5], v[4:5], v[112:113]                    // 00000000F008: D3B14004 1802E104
	v_pk_mul_f32 v[6:7], v[6:7], v[114:115]                    // 00000000F010: D3B14006 1802E506
	v_pk_mul_f32 v[4:5], v[4:5], s[60:61]                      // 00000000F018: D3B14004 18007904
	v_pk_mul_f32 v[6:7], v[6:7], s[60:61]                      // 00000000F020: D3B14006 18007906
	v_exp_f32_e32 v4, v4                                       // 00000000F028: 7E084104
	v_exp_f32_e32 v5, v5                                       // 00000000F02C: 7E0A4105
	v_exp_f32_e32 v6, v6                                       // 00000000F030: 7E0C4106
	v_exp_f32_e32 v7, v7                                       // 00000000F034: 7E0E4107
	v_add_f32_e64 v4, v4, 1.0                                  // 00000000F038: D1010004 0001E504
	v_add_f32_e64 v5, v5, 1.0                                  // 00000000F040: D1010005 0001E505
	v_add_f32_e64 v6, v6, 1.0                                  // 00000000F048: D1010006 0001E506
	v_add_f32_e64 v7, v7, 1.0                                  // 00000000F050: D1010007 0001E507
	v_rcp_f32_e32 v4, v4                                       // 00000000F058: 7E084504
	v_rcp_f32_e32 v5, v5                                       // 00000000F05C: 7E0A4505
	v_rcp_f32_e32 v6, v6                                       // 00000000F060: 7E0C4506
	v_rcp_f32_e32 v7, v7                                       // 00000000F064: 7E0E4507
	v_mul_f32_e32 v112, v112, v4                               // 00000000F068: 0AE00970
	v_mul_f32_e32 v113, v113, v5                               // 00000000F06C: 0AE20B71
	v_mul_f32_e32 v114, v114, v6                               // 00000000F070: 0AE40D72
	v_mul_f32_e32 v115, v115, v7                               // 00000000F074: 0AE60F73
	v_mul_f32_e32 v112, v112, v184                             // 00000000F078: 0AE17170
	v_mul_f32_e32 v113, v113, v185                             // 00000000F07C: 0AE37371
	v_mul_f32_e32 v114, v114, v186                             // 00000000F080: 0AE57572
	v_mul_f32_e32 v115, v115, v187                             // 00000000F084: 0AE77773
	v_pk_mul_f32 v[4:5], v[116:117], v[116:117]                // 00000000F088: D3B14004 1802E974
	v_pk_mul_f32 v[6:7], v[118:119], v[118:119]                // 00000000F090: D3B14006 1802ED76
	v_pk_fma_f32 v[4:5], v[4:5], s[78:79], v[8:9]              // 00000000F098: D3B04004 1C209D04
	v_pk_fma_f32 v[6:7], v[6:7], s[78:79], v[8:9]              // 00000000F0A0: D3B04006 1C209D06
	v_pk_mul_f32 v[4:5], v[4:5], v[116:117]                    // 00000000F0A8: D3B14004 1802E904
	v_pk_mul_f32 v[6:7], v[6:7], v[118:119]                    // 00000000F0B0: D3B14006 1802ED06
	v_pk_mul_f32 v[4:5], v[4:5], s[60:61]                      // 00000000F0B8: D3B14004 18007904
	v_pk_mul_f32 v[6:7], v[6:7], s[60:61]                      // 00000000F0C0: D3B14006 18007906
	v_exp_f32_e32 v4, v4                                       // 00000000F0C8: 7E084104
	v_exp_f32_e32 v5, v5                                       // 00000000F0CC: 7E0A4105
	v_exp_f32_e32 v6, v6                                       // 00000000F0D0: 7E0C4106
	v_exp_f32_e32 v7, v7                                       // 00000000F0D4: 7E0E4107
	v_add_f32_e64 v4, v4, 1.0                                  // 00000000F0D8: D1010004 0001E504
	v_add_f32_e64 v5, v5, 1.0                                  // 00000000F0E0: D1010005 0001E505
	v_add_f32_e64 v6, v6, 1.0                                  // 00000000F0E8: D1010006 0001E506
	v_add_f32_e64 v7, v7, 1.0                                  // 00000000F0F0: D1010007 0001E507
	v_rcp_f32_e32 v4, v4                                       // 00000000F0F8: 7E084504
	v_rcp_f32_e32 v5, v5                                       // 00000000F0FC: 7E0A4505
	v_rcp_f32_e32 v6, v6                                       // 00000000F100: 7E0C4506
	v_rcp_f32_e32 v7, v7                                       // 00000000F104: 7E0E4507
	v_mul_f32_e32 v116, v116, v4                               // 00000000F108: 0AE80974
	v_mul_f32_e32 v117, v117, v5                               // 00000000F10C: 0AEA0B75
	v_mul_f32_e32 v118, v118, v6                               // 00000000F110: 0AEC0D76
	v_mul_f32_e32 v119, v119, v7                               // 00000000F114: 0AEE0F77
	v_mul_f32_e32 v116, v116, v188                             // 00000000F118: 0AE97974
	v_mul_f32_e32 v117, v117, v189                             // 00000000F11C: 0AEB7B75
	v_mul_f32_e32 v118, v118, v190                             // 00000000F120: 0AED7D76
	v_mul_f32_e32 v119, v119, v191                             // 00000000F124: 0AEF7F77
	v_pk_mul_f32 v[4:5], v[120:121], v[120:121]                // 00000000F128: D3B14004 1802F178
	v_pk_mul_f32 v[6:7], v[122:123], v[122:123]                // 00000000F130: D3B14006 1802F57A
	v_pk_fma_f32 v[4:5], v[4:5], s[78:79], v[8:9]              // 00000000F138: D3B04004 1C209D04
	v_pk_fma_f32 v[6:7], v[6:7], s[78:79], v[8:9]              // 00000000F140: D3B04006 1C209D06
	v_pk_mul_f32 v[4:5], v[4:5], v[120:121]                    // 00000000F148: D3B14004 1802F104
	v_pk_mul_f32 v[6:7], v[6:7], v[122:123]                    // 00000000F150: D3B14006 1802F506
	v_pk_mul_f32 v[4:5], v[4:5], s[60:61]                      // 00000000F158: D3B14004 18007904
	v_pk_mul_f32 v[6:7], v[6:7], s[60:61]                      // 00000000F160: D3B14006 18007906
	v_exp_f32_e32 v4, v4                                       // 00000000F168: 7E084104
	v_exp_f32_e32 v5, v5                                       // 00000000F16C: 7E0A4105
	v_exp_f32_e32 v6, v6                                       // 00000000F170: 7E0C4106
	v_exp_f32_e32 v7, v7                                       // 00000000F174: 7E0E4107
	v_add_f32_e64 v4, v4, 1.0                                  // 00000000F178: D1010004 0001E504
	v_add_f32_e64 v5, v5, 1.0                                  // 00000000F180: D1010005 0001E505
	v_add_f32_e64 v6, v6, 1.0                                  // 00000000F188: D1010006 0001E506
	v_add_f32_e64 v7, v7, 1.0                                  // 00000000F190: D1010007 0001E507
	v_rcp_f32_e32 v4, v4                                       // 00000000F198: 7E084504
	v_rcp_f32_e32 v5, v5                                       // 00000000F19C: 7E0A4505
	v_rcp_f32_e32 v6, v6                                       // 00000000F1A0: 7E0C4506
	v_rcp_f32_e32 v7, v7                                       // 00000000F1A4: 7E0E4507
	v_mul_f32_e32 v120, v120, v4                               // 00000000F1A8: 0AF00978
	v_mul_f32_e32 v121, v121, v5                               // 00000000F1AC: 0AF20B79
	v_mul_f32_e32 v122, v122, v6                               // 00000000F1B0: 0AF40D7A
	v_mul_f32_e32 v123, v123, v7                               // 00000000F1B4: 0AF60F7B
	v_mul_f32_e32 v120, v120, v192                             // 00000000F1B8: 0AF18178
	v_mul_f32_e32 v121, v121, v193                             // 00000000F1BC: 0AF38379
	v_mul_f32_e32 v122, v122, v194                             // 00000000F1C0: 0AF5857A
	v_mul_f32_e32 v123, v123, v195                             // 00000000F1C4: 0AF7877B
	v_pk_mul_f32 v[4:5], v[124:125], v[124:125]                // 00000000F1C8: D3B14004 1802F97C
	v_pk_mul_f32 v[6:7], v[126:127], v[126:127]                // 00000000F1D0: D3B14006 1802FD7E
	v_pk_fma_f32 v[4:5], v[4:5], s[78:79], v[8:9]              // 00000000F1D8: D3B04004 1C209D04
	v_pk_fma_f32 v[6:7], v[6:7], s[78:79], v[8:9]              // 00000000F1E0: D3B04006 1C209D06
	v_pk_mul_f32 v[4:5], v[4:5], v[124:125]                    // 00000000F1E8: D3B14004 1802F904
	v_pk_mul_f32 v[6:7], v[6:7], v[126:127]                    // 00000000F1F0: D3B14006 1802FD06
	v_pk_mul_f32 v[4:5], v[4:5], s[60:61]                      // 00000000F1F8: D3B14004 18007904
	v_pk_mul_f32 v[6:7], v[6:7], s[60:61]                      // 00000000F200: D3B14006 18007906
	v_exp_f32_e32 v4, v4                                       // 00000000F208: 7E084104
	v_exp_f32_e32 v5, v5                                       // 00000000F20C: 7E0A4105
	v_exp_f32_e32 v6, v6                                       // 00000000F210: 7E0C4106
	v_exp_f32_e32 v7, v7                                       // 00000000F214: 7E0E4107
	v_add_f32_e64 v4, v4, 1.0                                  // 00000000F218: D1010004 0001E504
	v_add_f32_e64 v5, v5, 1.0                                  // 00000000F220: D1010005 0001E505
	v_add_f32_e64 v6, v6, 1.0                                  // 00000000F228: D1010006 0001E506
	v_add_f32_e64 v7, v7, 1.0                                  // 00000000F230: D1010007 0001E507
	v_rcp_f32_e32 v4, v4                                       // 00000000F238: 7E084504
	v_rcp_f32_e32 v5, v5                                       // 00000000F23C: 7E0A4505
	v_rcp_f32_e32 v6, v6                                       // 00000000F240: 7E0C4506
	v_rcp_f32_e32 v7, v7                                       // 00000000F244: 7E0E4507
	v_mul_f32_e32 v124, v124, v4                               // 00000000F248: 0AF8097C
	v_mul_f32_e32 v125, v125, v5                               // 00000000F24C: 0AFA0B7D
	v_mul_f32_e32 v126, v126, v6                               // 00000000F250: 0AFC0D7E
	v_mul_f32_e32 v127, v127, v7                               // 00000000F254: 0AFE0F7F
	v_mul_f32_e32 v124, v124, v196                             // 00000000F258: 0AF9897C
	v_mul_f32_e32 v125, v125, v197                             // 00000000F25C: 0AFB8B7D
	v_mul_f32_e32 v126, v126, v198                             // 00000000F260: 0AFD8D7E
	v_mul_f32_e32 v127, v127, v199                             // 00000000F264: 0AFF8F7F
	v_pk_mul_f32 v[4:5], v[128:129], v[128:129]                // 00000000F268: D3B14004 18030180
	v_pk_mul_f32 v[6:7], v[130:131], v[130:131]                // 00000000F270: D3B14006 18030582
	v_pk_fma_f32 v[4:5], v[4:5], s[78:79], v[8:9]              // 00000000F278: D3B04004 1C209D04
	v_pk_fma_f32 v[6:7], v[6:7], s[78:79], v[8:9]              // 00000000F280: D3B04006 1C209D06
	v_pk_mul_f32 v[4:5], v[4:5], v[128:129]                    // 00000000F288: D3B14004 18030104
	v_pk_mul_f32 v[6:7], v[6:7], v[130:131]                    // 00000000F290: D3B14006 18030506
	v_pk_mul_f32 v[4:5], v[4:5], s[60:61]                      // 00000000F298: D3B14004 18007904
	v_pk_mul_f32 v[6:7], v[6:7], s[60:61]                      // 00000000F2A0: D3B14006 18007906
	v_exp_f32_e32 v4, v4                                       // 00000000F2A8: 7E084104
	v_exp_f32_e32 v5, v5                                       // 00000000F2AC: 7E0A4105
	v_exp_f32_e32 v6, v6                                       // 00000000F2B0: 7E0C4106
	v_exp_f32_e32 v7, v7                                       // 00000000F2B4: 7E0E4107
	v_add_f32_e64 v4, v4, 1.0                                  // 00000000F2B8: D1010004 0001E504
	v_add_f32_e64 v5, v5, 1.0                                  // 00000000F2C0: D1010005 0001E505
	v_add_f32_e64 v6, v6, 1.0                                  // 00000000F2C8: D1010006 0001E506
	v_add_f32_e64 v7, v7, 1.0                                  // 00000000F2D0: D1010007 0001E507
	v_rcp_f32_e32 v4, v4                                       // 00000000F2D8: 7E084504
	v_rcp_f32_e32 v5, v5                                       // 00000000F2DC: 7E0A4505
	v_rcp_f32_e32 v6, v6                                       // 00000000F2E0: 7E0C4506
	v_rcp_f32_e32 v7, v7                                       // 00000000F2E4: 7E0E4507
	v_mul_f32_e32 v128, v128, v4                               // 00000000F2E8: 0B000980
	v_mul_f32_e32 v129, v129, v5                               // 00000000F2EC: 0B020B81
	v_mul_f32_e32 v130, v130, v6                               // 00000000F2F0: 0B040D82
	v_mul_f32_e32 v131, v131, v7                               // 00000000F2F4: 0B060F83
	v_mul_f32_e32 v128, v128, v200                             // 00000000F2F8: 0B019180
	v_mul_f32_e32 v129, v129, v201                             // 00000000F2FC: 0B039381
	v_mul_f32_e32 v130, v130, v202                             // 00000000F300: 0B059582
	v_mul_f32_e32 v131, v131, v203                             // 00000000F304: 0B079783
	v_pk_mul_f32 v[4:5], v[132:133], v[132:133]                // 00000000F308: D3B14004 18030984
	v_pk_mul_f32 v[6:7], v[134:135], v[134:135]                // 00000000F310: D3B14006 18030D86
	v_pk_fma_f32 v[4:5], v[4:5], s[78:79], v[8:9]              // 00000000F318: D3B04004 1C209D04
	v_pk_fma_f32 v[6:7], v[6:7], s[78:79], v[8:9]              // 00000000F320: D3B04006 1C209D06
	v_pk_mul_f32 v[4:5], v[4:5], v[132:133]                    // 00000000F328: D3B14004 18030904
	v_pk_mul_f32 v[6:7], v[6:7], v[134:135]                    // 00000000F330: D3B14006 18030D06
	v_pk_mul_f32 v[4:5], v[4:5], s[60:61]                      // 00000000F338: D3B14004 18007904
	v_pk_mul_f32 v[6:7], v[6:7], s[60:61]                      // 00000000F340: D3B14006 18007906
	v_exp_f32_e32 v4, v4                                       // 00000000F348: 7E084104
	v_exp_f32_e32 v5, v5                                       // 00000000F34C: 7E0A4105
	v_exp_f32_e32 v6, v6                                       // 00000000F350: 7E0C4106
	v_exp_f32_e32 v7, v7                                       // 00000000F354: 7E0E4107
	v_add_f32_e64 v4, v4, 1.0                                  // 00000000F358: D1010004 0001E504
	v_add_f32_e64 v5, v5, 1.0                                  // 00000000F360: D1010005 0001E505
	v_add_f32_e64 v6, v6, 1.0                                  // 00000000F368: D1010006 0001E506
	v_add_f32_e64 v7, v7, 1.0                                  // 00000000F370: D1010007 0001E507
	v_rcp_f32_e32 v4, v4                                       // 00000000F378: 7E084504
	v_rcp_f32_e32 v5, v5                                       // 00000000F37C: 7E0A4505
	v_rcp_f32_e32 v6, v6                                       // 00000000F380: 7E0C4506
	v_rcp_f32_e32 v7, v7                                       // 00000000F384: 7E0E4507
	v_mul_f32_e32 v132, v132, v4                               // 00000000F388: 0B080984
	v_mul_f32_e32 v133, v133, v5                               // 00000000F38C: 0B0A0B85
	v_mul_f32_e32 v134, v134, v6                               // 00000000F390: 0B0C0D86
	v_mul_f32_e32 v135, v135, v7                               // 00000000F394: 0B0E0F87
	v_mul_f32_e32 v132, v132, v204                             // 00000000F398: 0B099984
	v_mul_f32_e32 v133, v133, v205                             // 00000000F39C: 0B0B9B85
	v_mul_f32_e32 v134, v134, v206                             // 00000000F3A0: 0B0D9D86
	v_mul_f32_e32 v135, v135, v207                             // 00000000F3A4: 0B0F9F87
	v_pk_mul_f32 v[4:5], v[136:137], v[136:137]                // 00000000F3A8: D3B14004 18031188
	v_pk_mul_f32 v[6:7], v[138:139], v[138:139]                // 00000000F3B0: D3B14006 1803158A
	v_pk_fma_f32 v[4:5], v[4:5], s[78:79], v[8:9]              // 00000000F3B8: D3B04004 1C209D04
	v_pk_fma_f32 v[6:7], v[6:7], s[78:79], v[8:9]              // 00000000F3C0: D3B04006 1C209D06
	v_pk_mul_f32 v[4:5], v[4:5], v[136:137]                    // 00000000F3C8: D3B14004 18031104
	v_pk_mul_f32 v[6:7], v[6:7], v[138:139]                    // 00000000F3D0: D3B14006 18031506
	v_pk_mul_f32 v[4:5], v[4:5], s[60:61]                      // 00000000F3D8: D3B14004 18007904
	v_pk_mul_f32 v[6:7], v[6:7], s[60:61]                      // 00000000F3E0: D3B14006 18007906
	v_exp_f32_e32 v4, v4                                       // 00000000F3E8: 7E084104
	v_exp_f32_e32 v5, v5                                       // 00000000F3EC: 7E0A4105
	v_exp_f32_e32 v6, v6                                       // 00000000F3F0: 7E0C4106
	v_exp_f32_e32 v7, v7                                       // 00000000F3F4: 7E0E4107
	v_add_f32_e64 v4, v4, 1.0                                  // 00000000F3F8: D1010004 0001E504
	v_add_f32_e64 v5, v5, 1.0                                  // 00000000F400: D1010005 0001E505
	v_add_f32_e64 v6, v6, 1.0                                  // 00000000F408: D1010006 0001E506
	v_add_f32_e64 v7, v7, 1.0                                  // 00000000F410: D1010007 0001E507
	v_rcp_f32_e32 v4, v4                                       // 00000000F418: 7E084504
	v_rcp_f32_e32 v5, v5                                       // 00000000F41C: 7E0A4505
	v_rcp_f32_e32 v6, v6                                       // 00000000F420: 7E0C4506
	v_rcp_f32_e32 v7, v7                                       // 00000000F424: 7E0E4507
	v_mul_f32_e32 v136, v136, v4                               // 00000000F428: 0B100988
	v_mul_f32_e32 v137, v137, v5                               // 00000000F42C: 0B120B89
	v_mul_f32_e32 v138, v138, v6                               // 00000000F430: 0B140D8A
	v_mul_f32_e32 v139, v139, v7                               // 00000000F434: 0B160F8B
	v_mul_f32_e32 v136, v136, v208                             // 00000000F438: 0B11A188
	v_mul_f32_e32 v137, v137, v209                             // 00000000F43C: 0B13A389
	v_mul_f32_e32 v138, v138, v210                             // 00000000F440: 0B15A58A
	v_mul_f32_e32 v139, v139, v211                             // 00000000F444: 0B17A78B
	v_pk_mul_f32 v[4:5], v[140:141], v[140:141]                // 00000000F448: D3B14004 1803198C
	v_pk_mul_f32 v[6:7], v[142:143], v[142:143]                // 00000000F450: D3B14006 18031D8E
	v_pk_fma_f32 v[4:5], v[4:5], s[78:79], v[8:9]              // 00000000F458: D3B04004 1C209D04
	v_pk_fma_f32 v[6:7], v[6:7], s[78:79], v[8:9]              // 00000000F460: D3B04006 1C209D06
	v_pk_mul_f32 v[4:5], v[4:5], v[140:141]                    // 00000000F468: D3B14004 18031904
	v_pk_mul_f32 v[6:7], v[6:7], v[142:143]                    // 00000000F470: D3B14006 18031D06
	v_pk_mul_f32 v[4:5], v[4:5], s[60:61]                      // 00000000F478: D3B14004 18007904
	v_pk_mul_f32 v[6:7], v[6:7], s[60:61]                      // 00000000F480: D3B14006 18007906
	v_exp_f32_e32 v4, v4                                       // 00000000F488: 7E084104
	v_exp_f32_e32 v5, v5                                       // 00000000F48C: 7E0A4105
	v_exp_f32_e32 v6, v6                                       // 00000000F490: 7E0C4106
	v_exp_f32_e32 v7, v7                                       // 00000000F494: 7E0E4107
	v_add_f32_e64 v4, v4, 1.0                                  // 00000000F498: D1010004 0001E504
	v_add_f32_e64 v5, v5, 1.0                                  // 00000000F4A0: D1010005 0001E505
	v_add_f32_e64 v6, v6, 1.0                                  // 00000000F4A8: D1010006 0001E506
	v_add_f32_e64 v7, v7, 1.0                                  // 00000000F4B0: D1010007 0001E507
	v_rcp_f32_e32 v4, v4                                       // 00000000F4B8: 7E084504
	v_rcp_f32_e32 v5, v5                                       // 00000000F4BC: 7E0A4505
	v_rcp_f32_e32 v6, v6                                       // 00000000F4C0: 7E0C4506
	v_rcp_f32_e32 v7, v7                                       // 00000000F4C4: 7E0E4507
	v_mul_f32_e32 v140, v140, v4                               // 00000000F4C8: 0B18098C
	v_mul_f32_e32 v141, v141, v5                               // 00000000F4CC: 0B1A0B8D
	v_mul_f32_e32 v142, v142, v6                               // 00000000F4D0: 0B1C0D8E
	v_mul_f32_e32 v143, v143, v7                               // 00000000F4D4: 0B1E0F8F
	v_mul_f32_e32 v140, v140, v212                             // 00000000F4D8: 0B19A98C
	v_mul_f32_e32 v141, v141, v213                             // 00000000F4DC: 0B1BAB8D
	v_mul_f32_e32 v142, v142, v214                             // 00000000F4E0: 0B1DAD8E
	v_mul_f32_e32 v143, v143, v215                             // 00000000F4E4: 0B1FAF8F
	v_pk_mul_f32 v[4:5], v[144:145], v[144:145]                // 00000000F4E8: D3B14004 18032190
	v_pk_mul_f32 v[6:7], v[146:147], v[146:147]                // 00000000F4F0: D3B14006 18032592
	v_pk_fma_f32 v[4:5], v[4:5], s[78:79], v[8:9]              // 00000000F4F8: D3B04004 1C209D04
	v_pk_fma_f32 v[6:7], v[6:7], s[78:79], v[8:9]              // 00000000F500: D3B04006 1C209D06
	v_pk_mul_f32 v[4:5], v[4:5], v[144:145]                    // 00000000F508: D3B14004 18032104
	v_pk_mul_f32 v[6:7], v[6:7], v[146:147]                    // 00000000F510: D3B14006 18032506
	v_pk_mul_f32 v[4:5], v[4:5], s[60:61]                      // 00000000F518: D3B14004 18007904
	v_pk_mul_f32 v[6:7], v[6:7], s[60:61]                      // 00000000F520: D3B14006 18007906
	v_exp_f32_e32 v4, v4                                       // 00000000F528: 7E084104
	v_exp_f32_e32 v5, v5                                       // 00000000F52C: 7E0A4105
	v_exp_f32_e32 v6, v6                                       // 00000000F530: 7E0C4106
	v_exp_f32_e32 v7, v7                                       // 00000000F534: 7E0E4107
	v_add_f32_e64 v4, v4, 1.0                                  // 00000000F538: D1010004 0001E504
	v_add_f32_e64 v5, v5, 1.0                                  // 00000000F540: D1010005 0001E505
	v_add_f32_e64 v6, v6, 1.0                                  // 00000000F548: D1010006 0001E506
	v_add_f32_e64 v7, v7, 1.0                                  // 00000000F550: D1010007 0001E507
	v_rcp_f32_e32 v4, v4                                       // 00000000F558: 7E084504
	v_rcp_f32_e32 v5, v5                                       // 00000000F55C: 7E0A4505
	v_rcp_f32_e32 v6, v6                                       // 00000000F560: 7E0C4506
	v_rcp_f32_e32 v7, v7                                       // 00000000F564: 7E0E4507
	v_mul_f32_e32 v144, v144, v4                               // 00000000F568: 0B200990
	v_mul_f32_e32 v145, v145, v5                               // 00000000F56C: 0B220B91
	v_mul_f32_e32 v146, v146, v6                               // 00000000F570: 0B240D92
	v_mul_f32_e32 v147, v147, v7                               // 00000000F574: 0B260F93
	v_mul_f32_e32 v144, v144, v216                             // 00000000F578: 0B21B190
	v_mul_f32_e32 v145, v145, v217                             // 00000000F57C: 0B23B391
	v_mul_f32_e32 v146, v146, v218                             // 00000000F580: 0B25B592
	v_mul_f32_e32 v147, v147, v219                             // 00000000F584: 0B27B793
	v_pk_mul_f32 v[4:5], v[148:149], v[148:149]                // 00000000F588: D3B14004 18032994
	v_pk_mul_f32 v[6:7], v[150:151], v[150:151]                // 00000000F590: D3B14006 18032D96
	v_pk_fma_f32 v[4:5], v[4:5], s[78:79], v[8:9]              // 00000000F598: D3B04004 1C209D04
	v_pk_fma_f32 v[6:7], v[6:7], s[78:79], v[8:9]              // 00000000F5A0: D3B04006 1C209D06
	v_pk_mul_f32 v[4:5], v[4:5], v[148:149]                    // 00000000F5A8: D3B14004 18032904
	v_pk_mul_f32 v[6:7], v[6:7], v[150:151]                    // 00000000F5B0: D3B14006 18032D06
	v_pk_mul_f32 v[4:5], v[4:5], s[60:61]                      // 00000000F5B8: D3B14004 18007904
	v_pk_mul_f32 v[6:7], v[6:7], s[60:61]                      // 00000000F5C0: D3B14006 18007906
	v_exp_f32_e32 v4, v4                                       // 00000000F5C8: 7E084104
	v_exp_f32_e32 v5, v5                                       // 00000000F5CC: 7E0A4105
	v_exp_f32_e32 v6, v6                                       // 00000000F5D0: 7E0C4106
	v_exp_f32_e32 v7, v7                                       // 00000000F5D4: 7E0E4107
	v_add_f32_e64 v4, v4, 1.0                                  // 00000000F5D8: D1010004 0001E504
	v_add_f32_e64 v5, v5, 1.0                                  // 00000000F5E0: D1010005 0001E505
	v_add_f32_e64 v6, v6, 1.0                                  // 00000000F5E8: D1010006 0001E506
	v_add_f32_e64 v7, v7, 1.0                                  // 00000000F5F0: D1010007 0001E507
	v_rcp_f32_e32 v4, v4                                       // 00000000F5F8: 7E084504
	v_rcp_f32_e32 v5, v5                                       // 00000000F5FC: 7E0A4505
	v_rcp_f32_e32 v6, v6                                       // 00000000F600: 7E0C4506
	v_rcp_f32_e32 v7, v7                                       // 00000000F604: 7E0E4507
	v_mul_f32_e32 v148, v148, v4                               // 00000000F608: 0B280994
	v_mul_f32_e32 v149, v149, v5                               // 00000000F60C: 0B2A0B95
	v_mul_f32_e32 v150, v150, v6                               // 00000000F610: 0B2C0D96
	v_mul_f32_e32 v151, v151, v7                               // 00000000F614: 0B2E0F97
	v_mul_f32_e32 v148, v148, v220                             // 00000000F618: 0B29B994
	v_mul_f32_e32 v149, v149, v221                             // 00000000F61C: 0B2BBB95
	v_mul_f32_e32 v150, v150, v222                             // 00000000F620: 0B2DBD96
	v_mul_f32_e32 v151, v151, v223                             // 00000000F624: 0B2FBF97
	v_pk_mul_f32 v[4:5], v[152:153], v[152:153]                // 00000000F628: D3B14004 18033198
	v_pk_mul_f32 v[6:7], v[154:155], v[154:155]                // 00000000F630: D3B14006 1803359A
	v_pk_fma_f32 v[4:5], v[4:5], s[78:79], v[8:9]              // 00000000F638: D3B04004 1C209D04
	v_pk_fma_f32 v[6:7], v[6:7], s[78:79], v[8:9]              // 00000000F640: D3B04006 1C209D06
	v_pk_mul_f32 v[4:5], v[4:5], v[152:153]                    // 00000000F648: D3B14004 18033104
	v_pk_mul_f32 v[6:7], v[6:7], v[154:155]                    // 00000000F650: D3B14006 18033506
	v_pk_mul_f32 v[4:5], v[4:5], s[60:61]                      // 00000000F658: D3B14004 18007904
	v_pk_mul_f32 v[6:7], v[6:7], s[60:61]                      // 00000000F660: D3B14006 18007906
	v_exp_f32_e32 v4, v4                                       // 00000000F668: 7E084104
	v_exp_f32_e32 v5, v5                                       // 00000000F66C: 7E0A4105
	v_exp_f32_e32 v6, v6                                       // 00000000F670: 7E0C4106
	v_exp_f32_e32 v7, v7                                       // 00000000F674: 7E0E4107
	v_add_f32_e64 v4, v4, 1.0                                  // 00000000F678: D1010004 0001E504
	v_add_f32_e64 v5, v5, 1.0                                  // 00000000F680: D1010005 0001E505
	v_add_f32_e64 v6, v6, 1.0                                  // 00000000F688: D1010006 0001E506
	v_add_f32_e64 v7, v7, 1.0                                  // 00000000F690: D1010007 0001E507
	v_rcp_f32_e32 v4, v4                                       // 00000000F698: 7E084504
	v_rcp_f32_e32 v5, v5                                       // 00000000F69C: 7E0A4505
	v_rcp_f32_e32 v6, v6                                       // 00000000F6A0: 7E0C4506
	v_rcp_f32_e32 v7, v7                                       // 00000000F6A4: 7E0E4507
	v_mul_f32_e32 v152, v152, v4                               // 00000000F6A8: 0B300998
	v_mul_f32_e32 v153, v153, v5                               // 00000000F6AC: 0B320B99
	v_mul_f32_e32 v154, v154, v6                               // 00000000F6B0: 0B340D9A
	v_mul_f32_e32 v155, v155, v7                               // 00000000F6B4: 0B360F9B
	v_mul_f32_e32 v152, v152, v224                             // 00000000F6B8: 0B31C198
	v_mul_f32_e32 v153, v153, v225                             // 00000000F6BC: 0B33C399
	v_mul_f32_e32 v154, v154, v226                             // 00000000F6C0: 0B35C59A
	v_mul_f32_e32 v155, v155, v227                             // 00000000F6C4: 0B37C79B
	v_pk_mul_f32 v[4:5], v[156:157], v[156:157]                // 00000000F6C8: D3B14004 1803399C
	v_pk_mul_f32 v[6:7], v[158:159], v[158:159]                // 00000000F6D0: D3B14006 18033D9E
	v_pk_fma_f32 v[4:5], v[4:5], s[78:79], v[8:9]              // 00000000F6D8: D3B04004 1C209D04
	v_pk_fma_f32 v[6:7], v[6:7], s[78:79], v[8:9]              // 00000000F6E0: D3B04006 1C209D06
	v_pk_mul_f32 v[4:5], v[4:5], v[156:157]                    // 00000000F6E8: D3B14004 18033904
	v_pk_mul_f32 v[6:7], v[6:7], v[158:159]                    // 00000000F6F0: D3B14006 18033D06
	v_pk_mul_f32 v[4:5], v[4:5], s[60:61]                      // 00000000F6F8: D3B14004 18007904
	v_pk_mul_f32 v[6:7], v[6:7], s[60:61]                      // 00000000F700: D3B14006 18007906
	v_exp_f32_e32 v4, v4                                       // 00000000F708: 7E084104
	v_exp_f32_e32 v5, v5                                       // 00000000F70C: 7E0A4105
	v_exp_f32_e32 v6, v6                                       // 00000000F710: 7E0C4106
	v_exp_f32_e32 v7, v7                                       // 00000000F714: 7E0E4107
	v_add_f32_e64 v4, v4, 1.0                                  // 00000000F718: D1010004 0001E504
	v_add_f32_e64 v5, v5, 1.0                                  // 00000000F720: D1010005 0001E505
	v_add_f32_e64 v6, v6, 1.0                                  // 00000000F728: D1010006 0001E506
	v_add_f32_e64 v7, v7, 1.0                                  // 00000000F730: D1010007 0001E507
	v_rcp_f32_e32 v4, v4                                       // 00000000F738: 7E084504
	v_rcp_f32_e32 v5, v5                                       // 00000000F73C: 7E0A4505
	v_rcp_f32_e32 v6, v6                                       // 00000000F740: 7E0C4506
	v_rcp_f32_e32 v7, v7                                       // 00000000F744: 7E0E4507
	v_mul_f32_e32 v156, v156, v4                               // 00000000F748: 0B38099C
	v_mul_f32_e32 v157, v157, v5                               // 00000000F74C: 0B3A0B9D
	v_mul_f32_e32 v158, v158, v6                               // 00000000F750: 0B3C0D9E
	v_mul_f32_e32 v159, v159, v7                               // 00000000F754: 0B3E0F9F
	v_mul_f32_e32 v156, v156, v228                             // 00000000F758: 0B39C99C
	v_mul_f32_e32 v157, v157, v229                             // 00000000F75C: 0B3BCB9D
	v_mul_f32_e32 v158, v158, v230                             // 00000000F760: 0B3DCD9E
	v_mul_f32_e32 v159, v159, v231                             // 00000000F764: 0B3FCF9F
	s_branch label_359E                                        // 00000000F768: BF820240

000000000000f76c <label_335E>:
	v_mul_f32_e64 v4, -v88, s6                                 // 00000000F76C: D1050004 20000D58
	v_mul_f32_e64 v5, -v89, s6                                 // 00000000F774: D1050005 20000D59
	v_mul_f32_e64 v6, -v90, s6                                 // 00000000F77C: D1050006 20000D5A
	v_mul_f32_e64 v7, -v91, s6                                 // 00000000F784: D1050007 20000D5B
	v_exp_f32_e32 v4, v4                                       // 00000000F78C: 7E084104
	v_exp_f32_e32 v5, v5                                       // 00000000F790: 7E0A4105
	v_exp_f32_e32 v6, v6                                       // 00000000F794: 7E0C4106
	v_exp_f32_e32 v7, v7                                       // 00000000F798: 7E0E4107
	v_add_f32_e64 v4, v4, 1.0                                  // 00000000F79C: D1010004 0001E504
	v_add_f32_e64 v5, v5, 1.0                                  // 00000000F7A4: D1010005 0001E505
	v_add_f32_e64 v6, v6, 1.0                                  // 00000000F7AC: D1010006 0001E506
	v_add_f32_e64 v7, v7, 1.0                                  // 00000000F7B4: D1010007 0001E507
	v_rcp_f32_e32 v4, v4                                       // 00000000F7BC: 7E084504
	v_rcp_f32_e32 v5, v5                                       // 00000000F7C0: 7E0A4505
	v_rcp_f32_e32 v6, v6                                       // 00000000F7C4: 7E0C4506
	v_rcp_f32_e32 v7, v7                                       // 00000000F7C8: 7E0E4507
	v_mul_f32_e32 v88, v88, v4                                 // 00000000F7CC: 0AB00958
	v_mul_f32_e32 v89, v89, v5                                 // 00000000F7D0: 0AB20B59
	v_mul_f32_e32 v90, v90, v6                                 // 00000000F7D4: 0AB40D5A
	v_mul_f32_e32 v91, v91, v7                                 // 00000000F7D8: 0AB60F5B
	v_mul_f32_e32 v88, v88, v160                               // 00000000F7DC: 0AB14158
	v_mul_f32_e32 v89, v89, v161                               // 00000000F7E0: 0AB34359
	v_mul_f32_e32 v90, v90, v162                               // 00000000F7E4: 0AB5455A
	v_mul_f32_e32 v91, v91, v163                               // 00000000F7E8: 0AB7475B
	v_mul_f32_e64 v4, -v92, s6                                 // 00000000F7EC: D1050004 20000D5C
	v_mul_f32_e64 v5, -v93, s6                                 // 00000000F7F4: D1050005 20000D5D
	v_mul_f32_e64 v6, -v94, s6                                 // 00000000F7FC: D1050006 20000D5E
	v_mul_f32_e64 v7, -v95, s6                                 // 00000000F804: D1050007 20000D5F
	v_exp_f32_e32 v4, v4                                       // 00000000F80C: 7E084104
	v_exp_f32_e32 v5, v5                                       // 00000000F810: 7E0A4105
	v_exp_f32_e32 v6, v6                                       // 00000000F814: 7E0C4106
	v_exp_f32_e32 v7, v7                                       // 00000000F818: 7E0E4107
	v_add_f32_e64 v4, v4, 1.0                                  // 00000000F81C: D1010004 0001E504
	v_add_f32_e64 v5, v5, 1.0                                  // 00000000F824: D1010005 0001E505
	v_add_f32_e64 v6, v6, 1.0                                  // 00000000F82C: D1010006 0001E506
	v_add_f32_e64 v7, v7, 1.0                                  // 00000000F834: D1010007 0001E507
	v_rcp_f32_e32 v4, v4                                       // 00000000F83C: 7E084504
	v_rcp_f32_e32 v5, v5                                       // 00000000F840: 7E0A4505
	v_rcp_f32_e32 v6, v6                                       // 00000000F844: 7E0C4506
	v_rcp_f32_e32 v7, v7                                       // 00000000F848: 7E0E4507
	v_mul_f32_e32 v92, v92, v4                                 // 00000000F84C: 0AB8095C
	v_mul_f32_e32 v93, v93, v5                                 // 00000000F850: 0ABA0B5D
	v_mul_f32_e32 v94, v94, v6                                 // 00000000F854: 0ABC0D5E
	v_mul_f32_e32 v95, v95, v7                                 // 00000000F858: 0ABE0F5F
	v_mul_f32_e32 v92, v92, v164                               // 00000000F85C: 0AB9495C
	v_mul_f32_e32 v93, v93, v165                               // 00000000F860: 0ABB4B5D
	v_mul_f32_e32 v94, v94, v166                               // 00000000F864: 0ABD4D5E
	v_mul_f32_e32 v95, v95, v167                               // 00000000F868: 0ABF4F5F
	v_mul_f32_e64 v4, -v96, s6                                 // 00000000F86C: D1050004 20000D60
	v_mul_f32_e64 v5, -v97, s6                                 // 00000000F874: D1050005 20000D61
	v_mul_f32_e64 v6, -v98, s6                                 // 00000000F87C: D1050006 20000D62
	v_mul_f32_e64 v7, -v99, s6                                 // 00000000F884: D1050007 20000D63
	v_exp_f32_e32 v4, v4                                       // 00000000F88C: 7E084104
	v_exp_f32_e32 v5, v5                                       // 00000000F890: 7E0A4105
	v_exp_f32_e32 v6, v6                                       // 00000000F894: 7E0C4106
	v_exp_f32_e32 v7, v7                                       // 00000000F898: 7E0E4107
	v_add_f32_e64 v4, v4, 1.0                                  // 00000000F89C: D1010004 0001E504
	v_add_f32_e64 v5, v5, 1.0                                  // 00000000F8A4: D1010005 0001E505
	v_add_f32_e64 v6, v6, 1.0                                  // 00000000F8AC: D1010006 0001E506
	v_add_f32_e64 v7, v7, 1.0                                  // 00000000F8B4: D1010007 0001E507
	v_rcp_f32_e32 v4, v4                                       // 00000000F8BC: 7E084504
	v_rcp_f32_e32 v5, v5                                       // 00000000F8C0: 7E0A4505
	v_rcp_f32_e32 v6, v6                                       // 00000000F8C4: 7E0C4506
	v_rcp_f32_e32 v7, v7                                       // 00000000F8C8: 7E0E4507
	v_mul_f32_e32 v96, v96, v4                                 // 00000000F8CC: 0AC00960
	v_mul_f32_e32 v97, v97, v5                                 // 00000000F8D0: 0AC20B61
	v_mul_f32_e32 v98, v98, v6                                 // 00000000F8D4: 0AC40D62
	v_mul_f32_e32 v99, v99, v7                                 // 00000000F8D8: 0AC60F63
	v_mul_f32_e32 v96, v96, v168                               // 00000000F8DC: 0AC15160
	v_mul_f32_e32 v97, v97, v169                               // 00000000F8E0: 0AC35361
	v_mul_f32_e32 v98, v98, v170                               // 00000000F8E4: 0AC55562
	v_mul_f32_e32 v99, v99, v171                               // 00000000F8E8: 0AC75763
	v_mul_f32_e64 v4, -v100, s6                                // 00000000F8EC: D1050004 20000D64
	v_mul_f32_e64 v5, -v101, s6                                // 00000000F8F4: D1050005 20000D65
	v_mul_f32_e64 v6, -v102, s6                                // 00000000F8FC: D1050006 20000D66
	v_mul_f32_e64 v7, -v103, s6                                // 00000000F904: D1050007 20000D67
	v_exp_f32_e32 v4, v4                                       // 00000000F90C: 7E084104
	v_exp_f32_e32 v5, v5                                       // 00000000F910: 7E0A4105
	v_exp_f32_e32 v6, v6                                       // 00000000F914: 7E0C4106
	v_exp_f32_e32 v7, v7                                       // 00000000F918: 7E0E4107
	v_add_f32_e64 v4, v4, 1.0                                  // 00000000F91C: D1010004 0001E504
	v_add_f32_e64 v5, v5, 1.0                                  // 00000000F924: D1010005 0001E505
	v_add_f32_e64 v6, v6, 1.0                                  // 00000000F92C: D1010006 0001E506
	v_add_f32_e64 v7, v7, 1.0                                  // 00000000F934: D1010007 0001E507
	v_rcp_f32_e32 v4, v4                                       // 00000000F93C: 7E084504
	v_rcp_f32_e32 v5, v5                                       // 00000000F940: 7E0A4505
	v_rcp_f32_e32 v6, v6                                       // 00000000F944: 7E0C4506
	v_rcp_f32_e32 v7, v7                                       // 00000000F948: 7E0E4507
	v_mul_f32_e32 v100, v100, v4                               // 00000000F94C: 0AC80964
	v_mul_f32_e32 v101, v101, v5                               // 00000000F950: 0ACA0B65
	v_mul_f32_e32 v102, v102, v6                               // 00000000F954: 0ACC0D66
	v_mul_f32_e32 v103, v103, v7                               // 00000000F958: 0ACE0F67
	v_mul_f32_e32 v100, v100, v172                             // 00000000F95C: 0AC95964
	v_mul_f32_e32 v101, v101, v173                             // 00000000F960: 0ACB5B65
	v_mul_f32_e32 v102, v102, v174                             // 00000000F964: 0ACD5D66
	v_mul_f32_e32 v103, v103, v175                             // 00000000F968: 0ACF5F67
	v_mul_f32_e64 v4, -v104, s6                                // 00000000F96C: D1050004 20000D68
	v_mul_f32_e64 v5, -v105, s6                                // 00000000F974: D1050005 20000D69
	v_mul_f32_e64 v6, -v106, s6                                // 00000000F97C: D1050006 20000D6A
	v_mul_f32_e64 v7, -v107, s6                                // 00000000F984: D1050007 20000D6B
	v_exp_f32_e32 v4, v4                                       // 00000000F98C: 7E084104
	v_exp_f32_e32 v5, v5                                       // 00000000F990: 7E0A4105
	v_exp_f32_e32 v6, v6                                       // 00000000F994: 7E0C4106
	v_exp_f32_e32 v7, v7                                       // 00000000F998: 7E0E4107
	v_add_f32_e64 v4, v4, 1.0                                  // 00000000F99C: D1010004 0001E504
	v_add_f32_e64 v5, v5, 1.0                                  // 00000000F9A4: D1010005 0001E505
	v_add_f32_e64 v6, v6, 1.0                                  // 00000000F9AC: D1010006 0001E506
	v_add_f32_e64 v7, v7, 1.0                                  // 00000000F9B4: D1010007 0001E507
	v_rcp_f32_e32 v4, v4                                       // 00000000F9BC: 7E084504
	v_rcp_f32_e32 v5, v5                                       // 00000000F9C0: 7E0A4505
	v_rcp_f32_e32 v6, v6                                       // 00000000F9C4: 7E0C4506
	v_rcp_f32_e32 v7, v7                                       // 00000000F9C8: 7E0E4507
	v_mul_f32_e32 v104, v104, v4                               // 00000000F9CC: 0AD00968
	v_mul_f32_e32 v105, v105, v5                               // 00000000F9D0: 0AD20B69
	v_mul_f32_e32 v106, v106, v6                               // 00000000F9D4: 0AD40D6A
	v_mul_f32_e32 v107, v107, v7                               // 00000000F9D8: 0AD60F6B
	v_mul_f32_e32 v104, v104, v176                             // 00000000F9DC: 0AD16168
	v_mul_f32_e32 v105, v105, v177                             // 00000000F9E0: 0AD36369
	v_mul_f32_e32 v106, v106, v178                             // 00000000F9E4: 0AD5656A
	v_mul_f32_e32 v107, v107, v179                             // 00000000F9E8: 0AD7676B
	v_mul_f32_e64 v4, -v108, s6                                // 00000000F9EC: D1050004 20000D6C
	v_mul_f32_e64 v5, -v109, s6                                // 00000000F9F4: D1050005 20000D6D
	v_mul_f32_e64 v6, -v110, s6                                // 00000000F9FC: D1050006 20000D6E
	v_mul_f32_e64 v7, -v111, s6                                // 00000000FA04: D1050007 20000D6F
	v_exp_f32_e32 v4, v4                                       // 00000000FA0C: 7E084104
	v_exp_f32_e32 v5, v5                                       // 00000000FA10: 7E0A4105
	v_exp_f32_e32 v6, v6                                       // 00000000FA14: 7E0C4106
	v_exp_f32_e32 v7, v7                                       // 00000000FA18: 7E0E4107
	v_add_f32_e64 v4, v4, 1.0                                  // 00000000FA1C: D1010004 0001E504
	v_add_f32_e64 v5, v5, 1.0                                  // 00000000FA24: D1010005 0001E505
	v_add_f32_e64 v6, v6, 1.0                                  // 00000000FA2C: D1010006 0001E506
	v_add_f32_e64 v7, v7, 1.0                                  // 00000000FA34: D1010007 0001E507
	v_rcp_f32_e32 v4, v4                                       // 00000000FA3C: 7E084504
	v_rcp_f32_e32 v5, v5                                       // 00000000FA40: 7E0A4505
	v_rcp_f32_e32 v6, v6                                       // 00000000FA44: 7E0C4506
	v_rcp_f32_e32 v7, v7                                       // 00000000FA48: 7E0E4507
	v_mul_f32_e32 v108, v108, v4                               // 00000000FA4C: 0AD8096C
	v_mul_f32_e32 v109, v109, v5                               // 00000000FA50: 0ADA0B6D
	v_mul_f32_e32 v110, v110, v6                               // 00000000FA54: 0ADC0D6E
	v_mul_f32_e32 v111, v111, v7                               // 00000000FA58: 0ADE0F6F
	v_mul_f32_e32 v108, v108, v180                             // 00000000FA5C: 0AD9696C
	v_mul_f32_e32 v109, v109, v181                             // 00000000FA60: 0ADB6B6D
	v_mul_f32_e32 v110, v110, v182                             // 00000000FA64: 0ADD6D6E
	v_mul_f32_e32 v111, v111, v183                             // 00000000FA68: 0ADF6F6F
	v_mul_f32_e64 v4, -v112, s6                                // 00000000FA6C: D1050004 20000D70
	v_mul_f32_e64 v5, -v113, s6                                // 00000000FA74: D1050005 20000D71
	v_mul_f32_e64 v6, -v114, s6                                // 00000000FA7C: D1050006 20000D72
	v_mul_f32_e64 v7, -v115, s6                                // 00000000FA84: D1050007 20000D73
	v_exp_f32_e32 v4, v4                                       // 00000000FA8C: 7E084104
	v_exp_f32_e32 v5, v5                                       // 00000000FA90: 7E0A4105
	v_exp_f32_e32 v6, v6                                       // 00000000FA94: 7E0C4106
	v_exp_f32_e32 v7, v7                                       // 00000000FA98: 7E0E4107
	v_add_f32_e64 v4, v4, 1.0                                  // 00000000FA9C: D1010004 0001E504
	v_add_f32_e64 v5, v5, 1.0                                  // 00000000FAA4: D1010005 0001E505
	v_add_f32_e64 v6, v6, 1.0                                  // 00000000FAAC: D1010006 0001E506
	v_add_f32_e64 v7, v7, 1.0                                  // 00000000FAB4: D1010007 0001E507
	v_rcp_f32_e32 v4, v4                                       // 00000000FABC: 7E084504
	v_rcp_f32_e32 v5, v5                                       // 00000000FAC0: 7E0A4505
	v_rcp_f32_e32 v6, v6                                       // 00000000FAC4: 7E0C4506
	v_rcp_f32_e32 v7, v7                                       // 00000000FAC8: 7E0E4507
	v_mul_f32_e32 v112, v112, v4                               // 00000000FACC: 0AE00970
	v_mul_f32_e32 v113, v113, v5                               // 00000000FAD0: 0AE20B71
	v_mul_f32_e32 v114, v114, v6                               // 00000000FAD4: 0AE40D72
	v_mul_f32_e32 v115, v115, v7                               // 00000000FAD8: 0AE60F73
	v_mul_f32_e32 v112, v112, v184                             // 00000000FADC: 0AE17170
	v_mul_f32_e32 v113, v113, v185                             // 00000000FAE0: 0AE37371
	v_mul_f32_e32 v114, v114, v186                             // 00000000FAE4: 0AE57572
	v_mul_f32_e32 v115, v115, v187                             // 00000000FAE8: 0AE77773
	v_mul_f32_e64 v4, -v116, s6                                // 00000000FAEC: D1050004 20000D74
	v_mul_f32_e64 v5, -v117, s6                                // 00000000FAF4: D1050005 20000D75
	v_mul_f32_e64 v6, -v118, s6                                // 00000000FAFC: D1050006 20000D76
	v_mul_f32_e64 v7, -v119, s6                                // 00000000FB04: D1050007 20000D77
	v_exp_f32_e32 v4, v4                                       // 00000000FB0C: 7E084104
	v_exp_f32_e32 v5, v5                                       // 00000000FB10: 7E0A4105
	v_exp_f32_e32 v6, v6                                       // 00000000FB14: 7E0C4106
	v_exp_f32_e32 v7, v7                                       // 00000000FB18: 7E0E4107
	v_add_f32_e64 v4, v4, 1.0                                  // 00000000FB1C: D1010004 0001E504
	v_add_f32_e64 v5, v5, 1.0                                  // 00000000FB24: D1010005 0001E505
	v_add_f32_e64 v6, v6, 1.0                                  // 00000000FB2C: D1010006 0001E506
	v_add_f32_e64 v7, v7, 1.0                                  // 00000000FB34: D1010007 0001E507
	v_rcp_f32_e32 v4, v4                                       // 00000000FB3C: 7E084504
	v_rcp_f32_e32 v5, v5                                       // 00000000FB40: 7E0A4505
	v_rcp_f32_e32 v6, v6                                       // 00000000FB44: 7E0C4506
	v_rcp_f32_e32 v7, v7                                       // 00000000FB48: 7E0E4507
	v_mul_f32_e32 v116, v116, v4                               // 00000000FB4C: 0AE80974
	v_mul_f32_e32 v117, v117, v5                               // 00000000FB50: 0AEA0B75
	v_mul_f32_e32 v118, v118, v6                               // 00000000FB54: 0AEC0D76
	v_mul_f32_e32 v119, v119, v7                               // 00000000FB58: 0AEE0F77
	v_mul_f32_e32 v116, v116, v188                             // 00000000FB5C: 0AE97974
	v_mul_f32_e32 v117, v117, v189                             // 00000000FB60: 0AEB7B75
	v_mul_f32_e32 v118, v118, v190                             // 00000000FB64: 0AED7D76
	v_mul_f32_e32 v119, v119, v191                             // 00000000FB68: 0AEF7F77
	v_mul_f32_e64 v4, -v120, s6                                // 00000000FB6C: D1050004 20000D78
	v_mul_f32_e64 v5, -v121, s6                                // 00000000FB74: D1050005 20000D79
	v_mul_f32_e64 v6, -v122, s6                                // 00000000FB7C: D1050006 20000D7A
	v_mul_f32_e64 v7, -v123, s6                                // 00000000FB84: D1050007 20000D7B
	v_exp_f32_e32 v4, v4                                       // 00000000FB8C: 7E084104
	v_exp_f32_e32 v5, v5                                       // 00000000FB90: 7E0A4105
	v_exp_f32_e32 v6, v6                                       // 00000000FB94: 7E0C4106
	v_exp_f32_e32 v7, v7                                       // 00000000FB98: 7E0E4107
	v_add_f32_e64 v4, v4, 1.0                                  // 00000000FB9C: D1010004 0001E504
	v_add_f32_e64 v5, v5, 1.0                                  // 00000000FBA4: D1010005 0001E505
	v_add_f32_e64 v6, v6, 1.0                                  // 00000000FBAC: D1010006 0001E506
	v_add_f32_e64 v7, v7, 1.0                                  // 00000000FBB4: D1010007 0001E507
	v_rcp_f32_e32 v4, v4                                       // 00000000FBBC: 7E084504
	v_rcp_f32_e32 v5, v5                                       // 00000000FBC0: 7E0A4505
	v_rcp_f32_e32 v6, v6                                       // 00000000FBC4: 7E0C4506
	v_rcp_f32_e32 v7, v7                                       // 00000000FBC8: 7E0E4507
	v_mul_f32_e32 v120, v120, v4                               // 00000000FBCC: 0AF00978
	v_mul_f32_e32 v121, v121, v5                               // 00000000FBD0: 0AF20B79
	v_mul_f32_e32 v122, v122, v6                               // 00000000FBD4: 0AF40D7A
	v_mul_f32_e32 v123, v123, v7                               // 00000000FBD8: 0AF60F7B
	v_mul_f32_e32 v120, v120, v192                             // 00000000FBDC: 0AF18178
	v_mul_f32_e32 v121, v121, v193                             // 00000000FBE0: 0AF38379
	v_mul_f32_e32 v122, v122, v194                             // 00000000FBE4: 0AF5857A
	v_mul_f32_e32 v123, v123, v195                             // 00000000FBE8: 0AF7877B
	v_mul_f32_e64 v4, -v124, s6                                // 00000000FBEC: D1050004 20000D7C
	v_mul_f32_e64 v5, -v125, s6                                // 00000000FBF4: D1050005 20000D7D
	v_mul_f32_e64 v6, -v126, s6                                // 00000000FBFC: D1050006 20000D7E
	v_mul_f32_e64 v7, -v127, s6                                // 00000000FC04: D1050007 20000D7F
	v_exp_f32_e32 v4, v4                                       // 00000000FC0C: 7E084104
	v_exp_f32_e32 v5, v5                                       // 00000000FC10: 7E0A4105
	v_exp_f32_e32 v6, v6                                       // 00000000FC14: 7E0C4106
	v_exp_f32_e32 v7, v7                                       // 00000000FC18: 7E0E4107
	v_add_f32_e64 v4, v4, 1.0                                  // 00000000FC1C: D1010004 0001E504
	v_add_f32_e64 v5, v5, 1.0                                  // 00000000FC24: D1010005 0001E505
	v_add_f32_e64 v6, v6, 1.0                                  // 00000000FC2C: D1010006 0001E506
	v_add_f32_e64 v7, v7, 1.0                                  // 00000000FC34: D1010007 0001E507
	v_rcp_f32_e32 v4, v4                                       // 00000000FC3C: 7E084504
	v_rcp_f32_e32 v5, v5                                       // 00000000FC40: 7E0A4505
	v_rcp_f32_e32 v6, v6                                       // 00000000FC44: 7E0C4506
	v_rcp_f32_e32 v7, v7                                       // 00000000FC48: 7E0E4507
	v_mul_f32_e32 v124, v124, v4                               // 00000000FC4C: 0AF8097C
	v_mul_f32_e32 v125, v125, v5                               // 00000000FC50: 0AFA0B7D
	v_mul_f32_e32 v126, v126, v6                               // 00000000FC54: 0AFC0D7E
	v_mul_f32_e32 v127, v127, v7                               // 00000000FC58: 0AFE0F7F
	v_mul_f32_e32 v124, v124, v196                             // 00000000FC5C: 0AF9897C
	v_mul_f32_e32 v125, v125, v197                             // 00000000FC60: 0AFB8B7D
	v_mul_f32_e32 v126, v126, v198                             // 00000000FC64: 0AFD8D7E
	v_mul_f32_e32 v127, v127, v199                             // 00000000FC68: 0AFF8F7F
	v_mul_f32_e64 v4, -v128, s6                                // 00000000FC6C: D1050004 20000D80
	v_mul_f32_e64 v5, -v129, s6                                // 00000000FC74: D1050005 20000D81
	v_mul_f32_e64 v6, -v130, s6                                // 00000000FC7C: D1050006 20000D82
	v_mul_f32_e64 v7, -v131, s6                                // 00000000FC84: D1050007 20000D83
	v_exp_f32_e32 v4, v4                                       // 00000000FC8C: 7E084104
	v_exp_f32_e32 v5, v5                                       // 00000000FC90: 7E0A4105
	v_exp_f32_e32 v6, v6                                       // 00000000FC94: 7E0C4106
	v_exp_f32_e32 v7, v7                                       // 00000000FC98: 7E0E4107
	v_add_f32_e64 v4, v4, 1.0                                  // 00000000FC9C: D1010004 0001E504
	v_add_f32_e64 v5, v5, 1.0                                  // 00000000FCA4: D1010005 0001E505
	v_add_f32_e64 v6, v6, 1.0                                  // 00000000FCAC: D1010006 0001E506
	v_add_f32_e64 v7, v7, 1.0                                  // 00000000FCB4: D1010007 0001E507
	v_rcp_f32_e32 v4, v4                                       // 00000000FCBC: 7E084504
	v_rcp_f32_e32 v5, v5                                       // 00000000FCC0: 7E0A4505
	v_rcp_f32_e32 v6, v6                                       // 00000000FCC4: 7E0C4506
	v_rcp_f32_e32 v7, v7                                       // 00000000FCC8: 7E0E4507
	v_mul_f32_e32 v128, v128, v4                               // 00000000FCCC: 0B000980
	v_mul_f32_e32 v129, v129, v5                               // 00000000FCD0: 0B020B81
	v_mul_f32_e32 v130, v130, v6                               // 00000000FCD4: 0B040D82
	v_mul_f32_e32 v131, v131, v7                               // 00000000FCD8: 0B060F83
	v_mul_f32_e32 v128, v128, v200                             // 00000000FCDC: 0B019180
	v_mul_f32_e32 v129, v129, v201                             // 00000000FCE0: 0B039381
	v_mul_f32_e32 v130, v130, v202                             // 00000000FCE4: 0B059582
	v_mul_f32_e32 v131, v131, v203                             // 00000000FCE8: 0B079783
	v_mul_f32_e64 v4, -v132, s6                                // 00000000FCEC: D1050004 20000D84
	v_mul_f32_e64 v5, -v133, s6                                // 00000000FCF4: D1050005 20000D85
	v_mul_f32_e64 v6, -v134, s6                                // 00000000FCFC: D1050006 20000D86
	v_mul_f32_e64 v7, -v135, s6                                // 00000000FD04: D1050007 20000D87
	v_exp_f32_e32 v4, v4                                       // 00000000FD0C: 7E084104
	v_exp_f32_e32 v5, v5                                       // 00000000FD10: 7E0A4105
	v_exp_f32_e32 v6, v6                                       // 00000000FD14: 7E0C4106
	v_exp_f32_e32 v7, v7                                       // 00000000FD18: 7E0E4107
	v_add_f32_e64 v4, v4, 1.0                                  // 00000000FD1C: D1010004 0001E504
	v_add_f32_e64 v5, v5, 1.0                                  // 00000000FD24: D1010005 0001E505
	v_add_f32_e64 v6, v6, 1.0                                  // 00000000FD2C: D1010006 0001E506
	v_add_f32_e64 v7, v7, 1.0                                  // 00000000FD34: D1010007 0001E507
	v_rcp_f32_e32 v4, v4                                       // 00000000FD3C: 7E084504
	v_rcp_f32_e32 v5, v5                                       // 00000000FD40: 7E0A4505
	v_rcp_f32_e32 v6, v6                                       // 00000000FD44: 7E0C4506
	v_rcp_f32_e32 v7, v7                                       // 00000000FD48: 7E0E4507
	v_mul_f32_e32 v132, v132, v4                               // 00000000FD4C: 0B080984
	v_mul_f32_e32 v133, v133, v5                               // 00000000FD50: 0B0A0B85
	v_mul_f32_e32 v134, v134, v6                               // 00000000FD54: 0B0C0D86
	v_mul_f32_e32 v135, v135, v7                               // 00000000FD58: 0B0E0F87
	v_mul_f32_e32 v132, v132, v204                             // 00000000FD5C: 0B099984
	v_mul_f32_e32 v133, v133, v205                             // 00000000FD60: 0B0B9B85
	v_mul_f32_e32 v134, v134, v206                             // 00000000FD64: 0B0D9D86
	v_mul_f32_e32 v135, v135, v207                             // 00000000FD68: 0B0F9F87
	v_mul_f32_e64 v4, -v136, s6                                // 00000000FD6C: D1050004 20000D88
	v_mul_f32_e64 v5, -v137, s6                                // 00000000FD74: D1050005 20000D89
	v_mul_f32_e64 v6, -v138, s6                                // 00000000FD7C: D1050006 20000D8A
	v_mul_f32_e64 v7, -v139, s6                                // 00000000FD84: D1050007 20000D8B
	v_exp_f32_e32 v4, v4                                       // 00000000FD8C: 7E084104
	v_exp_f32_e32 v5, v5                                       // 00000000FD90: 7E0A4105
	v_exp_f32_e32 v6, v6                                       // 00000000FD94: 7E0C4106
	v_exp_f32_e32 v7, v7                                       // 00000000FD98: 7E0E4107
	v_add_f32_e64 v4, v4, 1.0                                  // 00000000FD9C: D1010004 0001E504
	v_add_f32_e64 v5, v5, 1.0                                  // 00000000FDA4: D1010005 0001E505
	v_add_f32_e64 v6, v6, 1.0                                  // 00000000FDAC: D1010006 0001E506
	v_add_f32_e64 v7, v7, 1.0                                  // 00000000FDB4: D1010007 0001E507
	v_rcp_f32_e32 v4, v4                                       // 00000000FDBC: 7E084504
	v_rcp_f32_e32 v5, v5                                       // 00000000FDC0: 7E0A4505
	v_rcp_f32_e32 v6, v6                                       // 00000000FDC4: 7E0C4506
	v_rcp_f32_e32 v7, v7                                       // 00000000FDC8: 7E0E4507
	v_mul_f32_e32 v136, v136, v4                               // 00000000FDCC: 0B100988
	v_mul_f32_e32 v137, v137, v5                               // 00000000FDD0: 0B120B89
	v_mul_f32_e32 v138, v138, v6                               // 00000000FDD4: 0B140D8A
	v_mul_f32_e32 v139, v139, v7                               // 00000000FDD8: 0B160F8B
	v_mul_f32_e32 v136, v136, v208                             // 00000000FDDC: 0B11A188
	v_mul_f32_e32 v137, v137, v209                             // 00000000FDE0: 0B13A389
	v_mul_f32_e32 v138, v138, v210                             // 00000000FDE4: 0B15A58A
	v_mul_f32_e32 v139, v139, v211                             // 00000000FDE8: 0B17A78B
	v_mul_f32_e64 v4, -v140, s6                                // 00000000FDEC: D1050004 20000D8C
	v_mul_f32_e64 v5, -v141, s6                                // 00000000FDF4: D1050005 20000D8D
	v_mul_f32_e64 v6, -v142, s6                                // 00000000FDFC: D1050006 20000D8E
	v_mul_f32_e64 v7, -v143, s6                                // 00000000FE04: D1050007 20000D8F
	v_exp_f32_e32 v4, v4                                       // 00000000FE0C: 7E084104
	v_exp_f32_e32 v5, v5                                       // 00000000FE10: 7E0A4105
	v_exp_f32_e32 v6, v6                                       // 00000000FE14: 7E0C4106
	v_exp_f32_e32 v7, v7                                       // 00000000FE18: 7E0E4107
	v_add_f32_e64 v4, v4, 1.0                                  // 00000000FE1C: D1010004 0001E504
	v_add_f32_e64 v5, v5, 1.0                                  // 00000000FE24: D1010005 0001E505
	v_add_f32_e64 v6, v6, 1.0                                  // 00000000FE2C: D1010006 0001E506
	v_add_f32_e64 v7, v7, 1.0                                  // 00000000FE34: D1010007 0001E507
	v_rcp_f32_e32 v4, v4                                       // 00000000FE3C: 7E084504
	v_rcp_f32_e32 v5, v5                                       // 00000000FE40: 7E0A4505
	v_rcp_f32_e32 v6, v6                                       // 00000000FE44: 7E0C4506
	v_rcp_f32_e32 v7, v7                                       // 00000000FE48: 7E0E4507
	v_mul_f32_e32 v140, v140, v4                               // 00000000FE4C: 0B18098C
	v_mul_f32_e32 v141, v141, v5                               // 00000000FE50: 0B1A0B8D
	v_mul_f32_e32 v142, v142, v6                               // 00000000FE54: 0B1C0D8E
	v_mul_f32_e32 v143, v143, v7                               // 00000000FE58: 0B1E0F8F
	v_mul_f32_e32 v140, v140, v212                             // 00000000FE5C: 0B19A98C
	v_mul_f32_e32 v141, v141, v213                             // 00000000FE60: 0B1BAB8D
	v_mul_f32_e32 v142, v142, v214                             // 00000000FE64: 0B1DAD8E
	v_mul_f32_e32 v143, v143, v215                             // 00000000FE68: 0B1FAF8F
	v_mul_f32_e64 v4, -v144, s6                                // 00000000FE6C: D1050004 20000D90
	v_mul_f32_e64 v5, -v145, s6                                // 00000000FE74: D1050005 20000D91
	v_mul_f32_e64 v6, -v146, s6                                // 00000000FE7C: D1050006 20000D92
	v_mul_f32_e64 v7, -v147, s6                                // 00000000FE84: D1050007 20000D93
	v_exp_f32_e32 v4, v4                                       // 00000000FE8C: 7E084104
	v_exp_f32_e32 v5, v5                                       // 00000000FE90: 7E0A4105
	v_exp_f32_e32 v6, v6                                       // 00000000FE94: 7E0C4106
	v_exp_f32_e32 v7, v7                                       // 00000000FE98: 7E0E4107
	v_add_f32_e64 v4, v4, 1.0                                  // 00000000FE9C: D1010004 0001E504
	v_add_f32_e64 v5, v5, 1.0                                  // 00000000FEA4: D1010005 0001E505
	v_add_f32_e64 v6, v6, 1.0                                  // 00000000FEAC: D1010006 0001E506
	v_add_f32_e64 v7, v7, 1.0                                  // 00000000FEB4: D1010007 0001E507
	v_rcp_f32_e32 v4, v4                                       // 00000000FEBC: 7E084504
	v_rcp_f32_e32 v5, v5                                       // 00000000FEC0: 7E0A4505
	v_rcp_f32_e32 v6, v6                                       // 00000000FEC4: 7E0C4506
	v_rcp_f32_e32 v7, v7                                       // 00000000FEC8: 7E0E4507
	v_mul_f32_e32 v144, v144, v4                               // 00000000FECC: 0B200990
	v_mul_f32_e32 v145, v145, v5                               // 00000000FED0: 0B220B91
	v_mul_f32_e32 v146, v146, v6                               // 00000000FED4: 0B240D92
	v_mul_f32_e32 v147, v147, v7                               // 00000000FED8: 0B260F93
	v_mul_f32_e32 v144, v144, v216                             // 00000000FEDC: 0B21B190
	v_mul_f32_e32 v145, v145, v217                             // 00000000FEE0: 0B23B391
	v_mul_f32_e32 v146, v146, v218                             // 00000000FEE4: 0B25B592
	v_mul_f32_e32 v147, v147, v219                             // 00000000FEE8: 0B27B793
	v_mul_f32_e64 v4, -v148, s6                                // 00000000FEEC: D1050004 20000D94
	v_mul_f32_e64 v5, -v149, s6                                // 00000000FEF4: D1050005 20000D95
	v_mul_f32_e64 v6, -v150, s6                                // 00000000FEFC: D1050006 20000D96
	v_mul_f32_e64 v7, -v151, s6                                // 00000000FF04: D1050007 20000D97
	v_exp_f32_e32 v4, v4                                       // 00000000FF0C: 7E084104
	v_exp_f32_e32 v5, v5                                       // 00000000FF10: 7E0A4105
	v_exp_f32_e32 v6, v6                                       // 00000000FF14: 7E0C4106
	v_exp_f32_e32 v7, v7                                       // 00000000FF18: 7E0E4107
	v_add_f32_e64 v4, v4, 1.0                                  // 00000000FF1C: D1010004 0001E504
	v_add_f32_e64 v5, v5, 1.0                                  // 00000000FF24: D1010005 0001E505
	v_add_f32_e64 v6, v6, 1.0                                  // 00000000FF2C: D1010006 0001E506
	v_add_f32_e64 v7, v7, 1.0                                  // 00000000FF34: D1010007 0001E507
	v_rcp_f32_e32 v4, v4                                       // 00000000FF3C: 7E084504
	v_rcp_f32_e32 v5, v5                                       // 00000000FF40: 7E0A4505
	v_rcp_f32_e32 v6, v6                                       // 00000000FF44: 7E0C4506
	v_rcp_f32_e32 v7, v7                                       // 00000000FF48: 7E0E4507
	v_mul_f32_e32 v148, v148, v4                               // 00000000FF4C: 0B280994
	v_mul_f32_e32 v149, v149, v5                               // 00000000FF50: 0B2A0B95
	v_mul_f32_e32 v150, v150, v6                               // 00000000FF54: 0B2C0D96
	v_mul_f32_e32 v151, v151, v7                               // 00000000FF58: 0B2E0F97
	v_mul_f32_e32 v148, v148, v220                             // 00000000FF5C: 0B29B994
	v_mul_f32_e32 v149, v149, v221                             // 00000000FF60: 0B2BBB95
	v_mul_f32_e32 v150, v150, v222                             // 00000000FF64: 0B2DBD96
	v_mul_f32_e32 v151, v151, v223                             // 00000000FF68: 0B2FBF97
	v_mul_f32_e64 v4, -v152, s6                                // 00000000FF6C: D1050004 20000D98
	v_mul_f32_e64 v5, -v153, s6                                // 00000000FF74: D1050005 20000D99
	v_mul_f32_e64 v6, -v154, s6                                // 00000000FF7C: D1050006 20000D9A
	v_mul_f32_e64 v7, -v155, s6                                // 00000000FF84: D1050007 20000D9B
	v_exp_f32_e32 v4, v4                                       // 00000000FF8C: 7E084104
	v_exp_f32_e32 v5, v5                                       // 00000000FF90: 7E0A4105
	v_exp_f32_e32 v6, v6                                       // 00000000FF94: 7E0C4106
	v_exp_f32_e32 v7, v7                                       // 00000000FF98: 7E0E4107
	v_add_f32_e64 v4, v4, 1.0                                  // 00000000FF9C: D1010004 0001E504
	v_add_f32_e64 v5, v5, 1.0                                  // 00000000FFA4: D1010005 0001E505
	v_add_f32_e64 v6, v6, 1.0                                  // 00000000FFAC: D1010006 0001E506
	v_add_f32_e64 v7, v7, 1.0                                  // 00000000FFB4: D1010007 0001E507
	v_rcp_f32_e32 v4, v4                                       // 00000000FFBC: 7E084504
	v_rcp_f32_e32 v5, v5                                       // 00000000FFC0: 7E0A4505
	v_rcp_f32_e32 v6, v6                                       // 00000000FFC4: 7E0C4506
	v_rcp_f32_e32 v7, v7                                       // 00000000FFC8: 7E0E4507
	v_mul_f32_e32 v152, v152, v4                               // 00000000FFCC: 0B300998
	v_mul_f32_e32 v153, v153, v5                               // 00000000FFD0: 0B320B99
	v_mul_f32_e32 v154, v154, v6                               // 00000000FFD4: 0B340D9A
	v_mul_f32_e32 v155, v155, v7                               // 00000000FFD8: 0B360F9B
	v_mul_f32_e32 v152, v152, v224                             // 00000000FFDC: 0B31C198
	v_mul_f32_e32 v153, v153, v225                             // 00000000FFE0: 0B33C399
	v_mul_f32_e32 v154, v154, v226                             // 00000000FFE4: 0B35C59A
	v_mul_f32_e32 v155, v155, v227                             // 00000000FFE8: 0B37C79B
	v_mul_f32_e64 v4, -v156, s6                                // 00000000FFEC: D1050004 20000D9C
	v_mul_f32_e64 v5, -v157, s6                                // 00000000FFF4: D1050005 20000D9D
	v_mul_f32_e64 v6, -v158, s6                                // 00000000FFFC: D1050006 20000D9E
	v_mul_f32_e64 v7, -v159, s6                                // 000000010004: D1050007 20000D9F
	v_exp_f32_e32 v4, v4                                       // 00000001000C: 7E084104
	v_exp_f32_e32 v5, v5                                       // 000000010010: 7E0A4105
	v_exp_f32_e32 v6, v6                                       // 000000010014: 7E0C4106
	v_exp_f32_e32 v7, v7                                       // 000000010018: 7E0E4107
	v_add_f32_e64 v4, v4, 1.0                                  // 00000001001C: D1010004 0001E504
	v_add_f32_e64 v5, v5, 1.0                                  // 000000010024: D1010005 0001E505
	v_add_f32_e64 v6, v6, 1.0                                  // 00000001002C: D1010006 0001E506
	v_add_f32_e64 v7, v7, 1.0                                  // 000000010034: D1010007 0001E507
	v_rcp_f32_e32 v4, v4                                       // 00000001003C: 7E084504
	v_rcp_f32_e32 v5, v5                                       // 000000010040: 7E0A4505
	v_rcp_f32_e32 v6, v6                                       // 000000010044: 7E0C4506
	v_rcp_f32_e32 v7, v7                                       // 000000010048: 7E0E4507
	v_mul_f32_e32 v156, v156, v4                               // 00000001004C: 0B38099C
	v_mul_f32_e32 v157, v157, v5                               // 000000010050: 0B3A0B9D
	v_mul_f32_e32 v158, v158, v6                               // 000000010054: 0B3C0D9E
	v_mul_f32_e32 v159, v159, v7                               // 000000010058: 0B3E0F9F
	v_mul_f32_e32 v156, v156, v228                             // 00000001005C: 0B39C99C
	v_mul_f32_e32 v157, v157, v229                             // 000000010060: 0B3BCB9D
	v_mul_f32_e32 v158, v158, v230                             // 000000010064: 0B3DCD9E
	v_mul_f32_e32 v159, v159, v231                             // 000000010068: 0B3FCF9F

000000000001006c <label_359E>:
	v_cmp_u_f32_e64 s[46:47], v88, v88                         // 00000001006C: D048002E 0002B158
	v_add3_u32 v16, v88, v19, 1                                // 000000010074: D1FF0010 02062758
	v_cndmask_b32_e64 v4, v16, v18, s[46:47]                   // 00000001007C: D1000004 00BA2510
	v_cmp_u_f32_e64 s[46:47], v89, v89                         // 000000010084: D048002E 0002B359
	v_add3_u32 v16, v89, v19, 1                                // 00000001008C: D1FF0010 02062759
	v_cndmask_b32_e64 v5, v16, v18, s[46:47]                   // 000000010094: D1000005 00BA2510
	v_perm_b32 v88, v5, v4, s52                                // 00000001009C: D1ED0058 00D20905
	v_cmp_u_f32_e64 s[46:47], v90, v90                         // 0000000100A4: D048002E 0002B55A
	v_add3_u32 v16, v90, v19, 1                                // 0000000100AC: D1FF0010 0206275A
	v_cndmask_b32_e64 v4, v16, v18, s[46:47]                   // 0000000100B4: D1000004 00BA2510
	v_cmp_u_f32_e64 s[46:47], v91, v91                         // 0000000100BC: D048002E 0002B75B
	v_add3_u32 v16, v91, v19, 1                                // 0000000100C4: D1FF0010 0206275B
	v_cndmask_b32_e64 v5, v16, v18, s[46:47]                   // 0000000100CC: D1000005 00BA2510
	v_perm_b32 v89, v5, v4, s52                                // 0000000100D4: D1ED0059 00D20905
	v_cmp_u_f32_e64 s[46:47], v92, v92                         // 0000000100DC: D048002E 0002B95C
	v_add3_u32 v16, v92, v19, 1                                // 0000000100E4: D1FF0010 0206275C
	v_cndmask_b32_e64 v4, v16, v18, s[46:47]                   // 0000000100EC: D1000004 00BA2510
	v_cmp_u_f32_e64 s[46:47], v93, v93                         // 0000000100F4: D048002E 0002BB5D
	v_add3_u32 v16, v93, v19, 1                                // 0000000100FC: D1FF0010 0206275D
	v_cndmask_b32_e64 v5, v16, v18, s[46:47]                   // 000000010104: D1000005 00BA2510
	v_perm_b32 v90, v5, v4, s52                                // 00000001010C: D1ED005A 00D20905
	v_cmp_u_f32_e64 s[46:47], v94, v94                         // 000000010114: D048002E 0002BD5E
	v_add3_u32 v16, v94, v19, 1                                // 00000001011C: D1FF0010 0206275E
	v_cndmask_b32_e64 v4, v16, v18, s[46:47]                   // 000000010124: D1000004 00BA2510
	v_cmp_u_f32_e64 s[46:47], v95, v95                         // 00000001012C: D048002E 0002BF5F
	v_add3_u32 v16, v95, v19, 1                                // 000000010134: D1FF0010 0206275F
	v_cndmask_b32_e64 v5, v16, v18, s[46:47]                   // 00000001013C: D1000005 00BA2510
	v_perm_b32 v91, v5, v4, s52                                // 000000010144: D1ED005B 00D20905
	v_cmp_u_f32_e64 s[46:47], v96, v96                         // 00000001014C: D048002E 0002C160
	v_add3_u32 v16, v96, v19, 1                                // 000000010154: D1FF0010 02062760
	v_cndmask_b32_e64 v4, v16, v18, s[46:47]                   // 00000001015C: D1000004 00BA2510
	v_cmp_u_f32_e64 s[46:47], v97, v97                         // 000000010164: D048002E 0002C361
	v_add3_u32 v16, v97, v19, 1                                // 00000001016C: D1FF0010 02062761
	v_cndmask_b32_e64 v5, v16, v18, s[46:47]                   // 000000010174: D1000005 00BA2510
	v_perm_b32 v92, v5, v4, s52                                // 00000001017C: D1ED005C 00D20905
	v_cmp_u_f32_e64 s[46:47], v98, v98                         // 000000010184: D048002E 0002C562
	v_add3_u32 v16, v98, v19, 1                                // 00000001018C: D1FF0010 02062762
	v_cndmask_b32_e64 v4, v16, v18, s[46:47]                   // 000000010194: D1000004 00BA2510
	v_cmp_u_f32_e64 s[46:47], v99, v99                         // 00000001019C: D048002E 0002C763
	v_add3_u32 v16, v99, v19, 1                                // 0000000101A4: D1FF0010 02062763
	v_cndmask_b32_e64 v5, v16, v18, s[46:47]                   // 0000000101AC: D1000005 00BA2510
	v_perm_b32 v93, v5, v4, s52                                // 0000000101B4: D1ED005D 00D20905
	v_cmp_u_f32_e64 s[46:47], v100, v100                       // 0000000101BC: D048002E 0002C964
	v_add3_u32 v16, v100, v19, 1                               // 0000000101C4: D1FF0010 02062764
	v_cndmask_b32_e64 v4, v16, v18, s[46:47]                   // 0000000101CC: D1000004 00BA2510
	v_cmp_u_f32_e64 s[46:47], v101, v101                       // 0000000101D4: D048002E 0002CB65
	v_add3_u32 v16, v101, v19, 1                               // 0000000101DC: D1FF0010 02062765
	v_cndmask_b32_e64 v5, v16, v18, s[46:47]                   // 0000000101E4: D1000005 00BA2510
	v_perm_b32 v94, v5, v4, s52                                // 0000000101EC: D1ED005E 00D20905
	v_cmp_u_f32_e64 s[46:47], v102, v102                       // 0000000101F4: D048002E 0002CD66
	v_add3_u32 v16, v102, v19, 1                               // 0000000101FC: D1FF0010 02062766
	v_cndmask_b32_e64 v4, v16, v18, s[46:47]                   // 000000010204: D1000004 00BA2510
	v_cmp_u_f32_e64 s[46:47], v103, v103                       // 00000001020C: D048002E 0002CF67
	v_add3_u32 v16, v103, v19, 1                               // 000000010214: D1FF0010 02062767
	v_cndmask_b32_e64 v5, v16, v18, s[46:47]                   // 00000001021C: D1000005 00BA2510
	v_perm_b32 v95, v5, v4, s52                                // 000000010224: D1ED005F 00D20905
	v_cmp_u_f32_e64 s[46:47], v104, v104                       // 00000001022C: D048002E 0002D168
	v_add3_u32 v16, v104, v19, 1                               // 000000010234: D1FF0010 02062768
	v_cndmask_b32_e64 v4, v16, v18, s[46:47]                   // 00000001023C: D1000004 00BA2510
	v_cmp_u_f32_e64 s[46:47], v105, v105                       // 000000010244: D048002E 0002D369
	v_add3_u32 v16, v105, v19, 1                               // 00000001024C: D1FF0010 02062769
	v_cndmask_b32_e64 v5, v16, v18, s[46:47]                   // 000000010254: D1000005 00BA2510
	v_perm_b32 v96, v5, v4, s52                                // 00000001025C: D1ED0060 00D20905
	v_cmp_u_f32_e64 s[46:47], v106, v106                       // 000000010264: D048002E 0002D56A
	v_add3_u32 v16, v106, v19, 1                               // 00000001026C: D1FF0010 0206276A
	v_cndmask_b32_e64 v4, v16, v18, s[46:47]                   // 000000010274: D1000004 00BA2510
	v_cmp_u_f32_e64 s[46:47], v107, v107                       // 00000001027C: D048002E 0002D76B
	v_add3_u32 v16, v107, v19, 1                               // 000000010284: D1FF0010 0206276B
	v_cndmask_b32_e64 v5, v16, v18, s[46:47]                   // 00000001028C: D1000005 00BA2510
	v_perm_b32 v97, v5, v4, s52                                // 000000010294: D1ED0061 00D20905
	v_cmp_u_f32_e64 s[46:47], v108, v108                       // 00000001029C: D048002E 0002D96C
	v_add3_u32 v16, v108, v19, 1                               // 0000000102A4: D1FF0010 0206276C
	v_cndmask_b32_e64 v4, v16, v18, s[46:47]                   // 0000000102AC: D1000004 00BA2510
	v_cmp_u_f32_e64 s[46:47], v109, v109                       // 0000000102B4: D048002E 0002DB6D
	v_add3_u32 v16, v109, v19, 1                               // 0000000102BC: D1FF0010 0206276D
	v_cndmask_b32_e64 v5, v16, v18, s[46:47]                   // 0000000102C4: D1000005 00BA2510
	v_perm_b32 v98, v5, v4, s52                                // 0000000102CC: D1ED0062 00D20905
	v_cmp_u_f32_e64 s[46:47], v110, v110                       // 0000000102D4: D048002E 0002DD6E
	v_add3_u32 v16, v110, v19, 1                               // 0000000102DC: D1FF0010 0206276E
	v_cndmask_b32_e64 v4, v16, v18, s[46:47]                   // 0000000102E4: D1000004 00BA2510
	v_cmp_u_f32_e64 s[46:47], v111, v111                       // 0000000102EC: D048002E 0002DF6F
	v_add3_u32 v16, v111, v19, 1                               // 0000000102F4: D1FF0010 0206276F
	v_cndmask_b32_e64 v5, v16, v18, s[46:47]                   // 0000000102FC: D1000005 00BA2510
	v_perm_b32 v99, v5, v4, s52                                // 000000010304: D1ED0063 00D20905
	v_cmp_u_f32_e64 s[46:47], v112, v112                       // 00000001030C: D048002E 0002E170
	v_add3_u32 v16, v112, v19, 1                               // 000000010314: D1FF0010 02062770
	v_cndmask_b32_e64 v4, v16, v18, s[46:47]                   // 00000001031C: D1000004 00BA2510
	v_cmp_u_f32_e64 s[46:47], v113, v113                       // 000000010324: D048002E 0002E371
	v_add3_u32 v16, v113, v19, 1                               // 00000001032C: D1FF0010 02062771
	v_cndmask_b32_e64 v5, v16, v18, s[46:47]                   // 000000010334: D1000005 00BA2510
	v_perm_b32 v100, v5, v4, s52                               // 00000001033C: D1ED0064 00D20905
	v_cmp_u_f32_e64 s[46:47], v114, v114                       // 000000010344: D048002E 0002E572
	v_add3_u32 v16, v114, v19, 1                               // 00000001034C: D1FF0010 02062772
	v_cndmask_b32_e64 v4, v16, v18, s[46:47]                   // 000000010354: D1000004 00BA2510
	v_cmp_u_f32_e64 s[46:47], v115, v115                       // 00000001035C: D048002E 0002E773
	v_add3_u32 v16, v115, v19, 1                               // 000000010364: D1FF0010 02062773
	v_cndmask_b32_e64 v5, v16, v18, s[46:47]                   // 00000001036C: D1000005 00BA2510
	v_perm_b32 v101, v5, v4, s52                               // 000000010374: D1ED0065 00D20905
	v_cmp_u_f32_e64 s[46:47], v116, v116                       // 00000001037C: D048002E 0002E974
	v_add3_u32 v16, v116, v19, 1                               // 000000010384: D1FF0010 02062774
	v_cndmask_b32_e64 v4, v16, v18, s[46:47]                   // 00000001038C: D1000004 00BA2510
	v_cmp_u_f32_e64 s[46:47], v117, v117                       // 000000010394: D048002E 0002EB75
	v_add3_u32 v16, v117, v19, 1                               // 00000001039C: D1FF0010 02062775
	v_cndmask_b32_e64 v5, v16, v18, s[46:47]                   // 0000000103A4: D1000005 00BA2510
	v_perm_b32 v102, v5, v4, s52                               // 0000000103AC: D1ED0066 00D20905
	v_cmp_u_f32_e64 s[46:47], v118, v118                       // 0000000103B4: D048002E 0002ED76
	v_add3_u32 v16, v118, v19, 1                               // 0000000103BC: D1FF0010 02062776
	v_cndmask_b32_e64 v4, v16, v18, s[46:47]                   // 0000000103C4: D1000004 00BA2510
	v_cmp_u_f32_e64 s[46:47], v119, v119                       // 0000000103CC: D048002E 0002EF77
	v_add3_u32 v16, v119, v19, 1                               // 0000000103D4: D1FF0010 02062777
	v_cndmask_b32_e64 v5, v16, v18, s[46:47]                   // 0000000103DC: D1000005 00BA2510
	v_perm_b32 v103, v5, v4, s52                               // 0000000103E4: D1ED0067 00D20905
	v_cmp_u_f32_e64 s[46:47], v120, v120                       // 0000000103EC: D048002E 0002F178
	v_add3_u32 v16, v120, v19, 1                               // 0000000103F4: D1FF0010 02062778
	v_cndmask_b32_e64 v4, v16, v18, s[46:47]                   // 0000000103FC: D1000004 00BA2510
	v_cmp_u_f32_e64 s[46:47], v121, v121                       // 000000010404: D048002E 0002F379
	v_add3_u32 v16, v121, v19, 1                               // 00000001040C: D1FF0010 02062779
	v_cndmask_b32_e64 v5, v16, v18, s[46:47]                   // 000000010414: D1000005 00BA2510
	v_perm_b32 v104, v5, v4, s52                               // 00000001041C: D1ED0068 00D20905
	v_cmp_u_f32_e64 s[46:47], v122, v122                       // 000000010424: D048002E 0002F57A
	v_add3_u32 v16, v122, v19, 1                               // 00000001042C: D1FF0010 0206277A
	v_cndmask_b32_e64 v4, v16, v18, s[46:47]                   // 000000010434: D1000004 00BA2510
	v_cmp_u_f32_e64 s[46:47], v123, v123                       // 00000001043C: D048002E 0002F77B
	v_add3_u32 v16, v123, v19, 1                               // 000000010444: D1FF0010 0206277B
	v_cndmask_b32_e64 v5, v16, v18, s[46:47]                   // 00000001044C: D1000005 00BA2510
	v_perm_b32 v105, v5, v4, s52                               // 000000010454: D1ED0069 00D20905
	v_cmp_u_f32_e64 s[46:47], v124, v124                       // 00000001045C: D048002E 0002F97C
	v_add3_u32 v16, v124, v19, 1                               // 000000010464: D1FF0010 0206277C
	v_cndmask_b32_e64 v4, v16, v18, s[46:47]                   // 00000001046C: D1000004 00BA2510
	v_cmp_u_f32_e64 s[46:47], v125, v125                       // 000000010474: D048002E 0002FB7D
	v_add3_u32 v16, v125, v19, 1                               // 00000001047C: D1FF0010 0206277D
	v_cndmask_b32_e64 v5, v16, v18, s[46:47]                   // 000000010484: D1000005 00BA2510
	v_perm_b32 v106, v5, v4, s52                               // 00000001048C: D1ED006A 00D20905
	v_cmp_u_f32_e64 s[46:47], v126, v126                       // 000000010494: D048002E 0002FD7E
	v_add3_u32 v16, v126, v19, 1                               // 00000001049C: D1FF0010 0206277E
	v_cndmask_b32_e64 v4, v16, v18, s[46:47]                   // 0000000104A4: D1000004 00BA2510
	v_cmp_u_f32_e64 s[46:47], v127, v127                       // 0000000104AC: D048002E 0002FF7F
	v_add3_u32 v16, v127, v19, 1                               // 0000000104B4: D1FF0010 0206277F
	v_cndmask_b32_e64 v5, v16, v18, s[46:47]                   // 0000000104BC: D1000005 00BA2510
	v_perm_b32 v107, v5, v4, s52                               // 0000000104C4: D1ED006B 00D20905
	v_cmp_u_f32_e64 s[46:47], v128, v128                       // 0000000104CC: D048002E 00030180
	v_add3_u32 v16, v128, v19, 1                               // 0000000104D4: D1FF0010 02062780
	v_cndmask_b32_e64 v4, v16, v18, s[46:47]                   // 0000000104DC: D1000004 00BA2510
	v_cmp_u_f32_e64 s[46:47], v129, v129                       // 0000000104E4: D048002E 00030381
	v_add3_u32 v16, v129, v19, 1                               // 0000000104EC: D1FF0010 02062781
	v_cndmask_b32_e64 v5, v16, v18, s[46:47]                   // 0000000104F4: D1000005 00BA2510
	v_perm_b32 v108, v5, v4, s52                               // 0000000104FC: D1ED006C 00D20905
	v_cmp_u_f32_e64 s[46:47], v130, v130                       // 000000010504: D048002E 00030582
	v_add3_u32 v16, v130, v19, 1                               // 00000001050C: D1FF0010 02062782
	v_cndmask_b32_e64 v4, v16, v18, s[46:47]                   // 000000010514: D1000004 00BA2510
	v_cmp_u_f32_e64 s[46:47], v131, v131                       // 00000001051C: D048002E 00030783
	v_add3_u32 v16, v131, v19, 1                               // 000000010524: D1FF0010 02062783
	v_cndmask_b32_e64 v5, v16, v18, s[46:47]                   // 00000001052C: D1000005 00BA2510
	v_perm_b32 v109, v5, v4, s52                               // 000000010534: D1ED006D 00D20905
	v_cmp_u_f32_e64 s[46:47], v132, v132                       // 00000001053C: D048002E 00030984
	v_add3_u32 v16, v132, v19, 1                               // 000000010544: D1FF0010 02062784
	v_cndmask_b32_e64 v4, v16, v18, s[46:47]                   // 00000001054C: D1000004 00BA2510
	v_cmp_u_f32_e64 s[46:47], v133, v133                       // 000000010554: D048002E 00030B85
	v_add3_u32 v16, v133, v19, 1                               // 00000001055C: D1FF0010 02062785
	v_cndmask_b32_e64 v5, v16, v18, s[46:47]                   // 000000010564: D1000005 00BA2510
	v_perm_b32 v110, v5, v4, s52                               // 00000001056C: D1ED006E 00D20905
	v_cmp_u_f32_e64 s[46:47], v134, v134                       // 000000010574: D048002E 00030D86
	v_add3_u32 v16, v134, v19, 1                               // 00000001057C: D1FF0010 02062786
	v_cndmask_b32_e64 v4, v16, v18, s[46:47]                   // 000000010584: D1000004 00BA2510
	v_cmp_u_f32_e64 s[46:47], v135, v135                       // 00000001058C: D048002E 00030F87
	v_add3_u32 v16, v135, v19, 1                               // 000000010594: D1FF0010 02062787
	v_cndmask_b32_e64 v5, v16, v18, s[46:47]                   // 00000001059C: D1000005 00BA2510
	v_perm_b32 v111, v5, v4, s52                               // 0000000105A4: D1ED006F 00D20905
	v_cmp_u_f32_e64 s[46:47], v136, v136                       // 0000000105AC: D048002E 00031188
	v_add3_u32 v16, v136, v19, 1                               // 0000000105B4: D1FF0010 02062788
	v_cndmask_b32_e64 v4, v16, v18, s[46:47]                   // 0000000105BC: D1000004 00BA2510
	v_cmp_u_f32_e64 s[46:47], v137, v137                       // 0000000105C4: D048002E 00031389
	v_add3_u32 v16, v137, v19, 1                               // 0000000105CC: D1FF0010 02062789
	v_cndmask_b32_e64 v5, v16, v18, s[46:47]                   // 0000000105D4: D1000005 00BA2510
	v_perm_b32 v112, v5, v4, s52                               // 0000000105DC: D1ED0070 00D20905
	v_cmp_u_f32_e64 s[46:47], v138, v138                       // 0000000105E4: D048002E 0003158A
	v_add3_u32 v16, v138, v19, 1                               // 0000000105EC: D1FF0010 0206278A
	v_cndmask_b32_e64 v4, v16, v18, s[46:47]                   // 0000000105F4: D1000004 00BA2510
	v_cmp_u_f32_e64 s[46:47], v139, v139                       // 0000000105FC: D048002E 0003178B
	v_add3_u32 v16, v139, v19, 1                               // 000000010604: D1FF0010 0206278B
	v_cndmask_b32_e64 v5, v16, v18, s[46:47]                   // 00000001060C: D1000005 00BA2510
	v_perm_b32 v113, v5, v4, s52                               // 000000010614: D1ED0071 00D20905
	v_cmp_u_f32_e64 s[46:47], v140, v140                       // 00000001061C: D048002E 0003198C
	v_add3_u32 v16, v140, v19, 1                               // 000000010624: D1FF0010 0206278C
	v_cndmask_b32_e64 v4, v16, v18, s[46:47]                   // 00000001062C: D1000004 00BA2510
	v_cmp_u_f32_e64 s[46:47], v141, v141                       // 000000010634: D048002E 00031B8D
	v_add3_u32 v16, v141, v19, 1                               // 00000001063C: D1FF0010 0206278D
	v_cndmask_b32_e64 v5, v16, v18, s[46:47]                   // 000000010644: D1000005 00BA2510
	v_perm_b32 v114, v5, v4, s52                               // 00000001064C: D1ED0072 00D20905
	v_cmp_u_f32_e64 s[46:47], v142, v142                       // 000000010654: D048002E 00031D8E
	v_add3_u32 v16, v142, v19, 1                               // 00000001065C: D1FF0010 0206278E
	v_cndmask_b32_e64 v4, v16, v18, s[46:47]                   // 000000010664: D1000004 00BA2510
	v_cmp_u_f32_e64 s[46:47], v143, v143                       // 00000001066C: D048002E 00031F8F
	v_add3_u32 v16, v143, v19, 1                               // 000000010674: D1FF0010 0206278F
	v_cndmask_b32_e64 v5, v16, v18, s[46:47]                   // 00000001067C: D1000005 00BA2510
	v_perm_b32 v115, v5, v4, s52                               // 000000010684: D1ED0073 00D20905
	v_cmp_u_f32_e64 s[46:47], v144, v144                       // 00000001068C: D048002E 00032190
	v_add3_u32 v16, v144, v19, 1                               // 000000010694: D1FF0010 02062790
	v_cndmask_b32_e64 v4, v16, v18, s[46:47]                   // 00000001069C: D1000004 00BA2510
	v_cmp_u_f32_e64 s[46:47], v145, v145                       // 0000000106A4: D048002E 00032391
	v_add3_u32 v16, v145, v19, 1                               // 0000000106AC: D1FF0010 02062791
	v_cndmask_b32_e64 v5, v16, v18, s[46:47]                   // 0000000106B4: D1000005 00BA2510
	v_perm_b32 v116, v5, v4, s52                               // 0000000106BC: D1ED0074 00D20905
	v_cmp_u_f32_e64 s[46:47], v146, v146                       // 0000000106C4: D048002E 00032592
	v_add3_u32 v16, v146, v19, 1                               // 0000000106CC: D1FF0010 02062792
	v_cndmask_b32_e64 v4, v16, v18, s[46:47]                   // 0000000106D4: D1000004 00BA2510
	v_cmp_u_f32_e64 s[46:47], v147, v147                       // 0000000106DC: D048002E 00032793
	v_add3_u32 v16, v147, v19, 1                               // 0000000106E4: D1FF0010 02062793
	v_cndmask_b32_e64 v5, v16, v18, s[46:47]                   // 0000000106EC: D1000005 00BA2510
	v_perm_b32 v117, v5, v4, s52                               // 0000000106F4: D1ED0075 00D20905
	v_cmp_u_f32_e64 s[46:47], v148, v148                       // 0000000106FC: D048002E 00032994
	v_add3_u32 v16, v148, v19, 1                               // 000000010704: D1FF0010 02062794
	v_cndmask_b32_e64 v4, v16, v18, s[46:47]                   // 00000001070C: D1000004 00BA2510
	v_cmp_u_f32_e64 s[46:47], v149, v149                       // 000000010714: D048002E 00032B95
	v_add3_u32 v16, v149, v19, 1                               // 00000001071C: D1FF0010 02062795
	v_cndmask_b32_e64 v5, v16, v18, s[46:47]                   // 000000010724: D1000005 00BA2510
	v_perm_b32 v118, v5, v4, s52                               // 00000001072C: D1ED0076 00D20905
	v_cmp_u_f32_e64 s[46:47], v150, v150                       // 000000010734: D048002E 00032D96
	v_add3_u32 v16, v150, v19, 1                               // 00000001073C: D1FF0010 02062796
	v_cndmask_b32_e64 v4, v16, v18, s[46:47]                   // 000000010744: D1000004 00BA2510
	v_cmp_u_f32_e64 s[46:47], v151, v151                       // 00000001074C: D048002E 00032F97
	v_add3_u32 v16, v151, v19, 1                               // 000000010754: D1FF0010 02062797
	v_cndmask_b32_e64 v5, v16, v18, s[46:47]                   // 00000001075C: D1000005 00BA2510
	v_perm_b32 v119, v5, v4, s52                               // 000000010764: D1ED0077 00D20905
	v_cmp_u_f32_e64 s[46:47], v152, v152                       // 00000001076C: D048002E 00033198
	v_add3_u32 v16, v152, v19, 1                               // 000000010774: D1FF0010 02062798
	v_cndmask_b32_e64 v4, v16, v18, s[46:47]                   // 00000001077C: D1000004 00BA2510
	v_cmp_u_f32_e64 s[46:47], v153, v153                       // 000000010784: D048002E 00033399
	v_add3_u32 v16, v153, v19, 1                               // 00000001078C: D1FF0010 02062799
	v_cndmask_b32_e64 v5, v16, v18, s[46:47]                   // 000000010794: D1000005 00BA2510
	v_perm_b32 v120, v5, v4, s52                               // 00000001079C: D1ED0078 00D20905
	v_cmp_u_f32_e64 s[46:47], v154, v154                       // 0000000107A4: D048002E 0003359A
	v_add3_u32 v16, v154, v19, 1                               // 0000000107AC: D1FF0010 0206279A
	v_cndmask_b32_e64 v4, v16, v18, s[46:47]                   // 0000000107B4: D1000004 00BA2510
	v_cmp_u_f32_e64 s[46:47], v155, v155                       // 0000000107BC: D048002E 0003379B
	v_add3_u32 v16, v155, v19, 1                               // 0000000107C4: D1FF0010 0206279B
	v_cndmask_b32_e64 v5, v16, v18, s[46:47]                   // 0000000107CC: D1000005 00BA2510
	v_perm_b32 v121, v5, v4, s52                               // 0000000107D4: D1ED0079 00D20905
	v_cmp_u_f32_e64 s[46:47], v156, v156                       // 0000000107DC: D048002E 0003399C
	v_add3_u32 v16, v156, v19, 1                               // 0000000107E4: D1FF0010 0206279C
	v_cndmask_b32_e64 v4, v16, v18, s[46:47]                   // 0000000107EC: D1000004 00BA2510
	v_cmp_u_f32_e64 s[46:47], v157, v157                       // 0000000107F4: D048002E 00033B9D
	v_add3_u32 v16, v157, v19, 1                               // 0000000107FC: D1FF0010 0206279D
	v_cndmask_b32_e64 v5, v16, v18, s[46:47]                   // 000000010804: D1000005 00BA2510
	v_perm_b32 v122, v5, v4, s52                               // 00000001080C: D1ED007A 00D20905
	v_cmp_u_f32_e64 s[46:47], v158, v158                       // 000000010814: D048002E 00033D9E
	v_add3_u32 v16, v158, v19, 1                               // 00000001081C: D1FF0010 0206279E
	v_cndmask_b32_e64 v4, v16, v18, s[46:47]                   // 000000010824: D1000004 00BA2510
	v_cmp_u_f32_e64 s[46:47], v159, v159                       // 00000001082C: D048002E 00033F9F
	v_add3_u32 v16, v159, v19, 1                               // 000000010834: D1FF0010 0206279F
	v_cndmask_b32_e64 v5, v16, v18, s[46:47]                   // 00000001083C: D1000005 00BA2510
	v_perm_b32 v123, v5, v4, s52                               // 000000010844: D1ED007B 00D20905
	ds_write_b64 v20, v[88:89]                                 // 00000001084C: D89A0000 00005814
	ds_write_b64 v20, v[90:91] offset:4352                     // 000000010854: D89A1100 00005A14
	ds_write_b64 v20, v[92:93] offset:8704                     // 00000001085C: D89A2200 00005C14
	ds_write_b64 v20, v[94:95] offset:13056                    // 000000010864: D89A3300 00005E14
	ds_write_b64 v20, v[96:97] offset:17408                    // 00000001086C: D89A4400 00006014
	ds_write_b64 v20, v[98:99] offset:21760                    // 000000010874: D89A5500 00006214
	ds_write_b64 v20, v[100:101] offset:26112                  // 00000001087C: D89A6600 00006414
	ds_write_b64 v20, v[102:103] offset:30464                  // 000000010884: D89A7700 00006614
	ds_write_b64 v20, v[104:105] offset:34816                  // 00000001088C: D89A8800 00006814
	ds_write_b64 v20, v[106:107] offset:2176                   // 000000010894: D89A0880 00006A14
	ds_write_b64 v20, v[108:109] offset:6528                   // 00000001089C: D89A1980 00006C14
	ds_write_b64 v20, v[110:111] offset:10880                  // 0000000108A4: D89A2A80 00006E14
	ds_write_b64 v20, v[112:113] offset:15232                  // 0000000108AC: D89A3B80 00007014
	ds_write_b64 v20, v[114:115] offset:19584                  // 0000000108B4: D89A4C80 00007214
	ds_write_b64 v20, v[116:117] offset:23936                  // 0000000108BC: D89A5D80 00007414
	ds_write_b64 v20, v[118:119] offset:28288                  // 0000000108C4: D89A6E80 00007614
	ds_write_b64 v20, v[120:121] offset:32640                  // 0000000108CC: D89A7F80 00007814
	ds_write_b64 v20, v[122:123] offset:36992                  // 0000000108D4: D89A9080 00007A14
	v_lshrrev_b32_e32 v4, 5, v0                                // 0000000108DC: 20080085
	v_xor_b32_e32 v5, 1, v4                                    // 0000000108E0: 2A0A0881
	s_mul_i32 s60, s65, 2                                      // 0000000108E4: 923C8241
	s_cmp_eq_u32 s88, 0                                        // 0000000108E8: BF068058
	s_cselect_b32 s61, 1, 4                                    // 0000000108EC: 853D8481
	s_mul_i32 s60, s61, s60                                    // 0000000108F0: 923C3C3D
	v_readlane_b32 s82, v3, 0                                  // 0000000108F4: D2890052 00010103
	s_lshr_b32 s61, s82, 24                                    // 0000000108FC: 8F3D9852
	s_and_b32 s82, s82, 0xffffff                               // 000000010900: 8652FF52 00FFFFFF
	s_mul_i32 s82, s82, s71                                    // 000000010908: 92524752
	s_mul_i32 s61, s60, s61                                    // 00000001090C: 923D3D3C
	s_add_u32 s82, s82, s61                                    // 000000010910: 80523D52
	v_mul_lo_u32 v6, v5, s82                                   // 000000010914: D2850006 0000A505
	v_readlane_b32 s82, v3, 1                                  // 00000001091C: D2890052 00010303
	s_lshr_b32 s61, s82, 24                                    // 000000010924: 8F3D9852
	s_and_b32 s82, s82, 0xffffff                               // 000000010928: 8652FF52 00FFFFFF
	s_mul_i32 s82, s82, s71                                    // 000000010930: 92524752
	s_mul_i32 s61, s60, s61                                    // 000000010934: 923D3D3C
	s_add_u32 s82, s82, s61                                    // 000000010938: 80523D52
	v_mul_lo_u32 v7, v4, s82                                   // 00000001093C: D2850007 0000A504
	v_add_u32_e32 v66, v6, v7                                  // 000000010944: 68840F06
	v_readlane_b32 s82, v3, 2                                  // 000000010948: D2890052 00010503
	s_lshr_b32 s61, s82, 24                                    // 000000010950: 8F3D9852
	s_and_b32 s82, s82, 0xffffff                               // 000000010954: 8652FF52 00FFFFFF
	s_mul_i32 s82, s82, s71                                    // 00000001095C: 92524752
	s_mul_i32 s61, s60, s61                                    // 000000010960: 923D3D3C
	s_add_u32 s82, s82, s61                                    // 000000010964: 80523D52
	v_mul_lo_u32 v6, v5, s82                                   // 000000010968: D2850006 0000A505
	v_readlane_b32 s82, v3, 3                                  // 000000010970: D2890052 00010703
	s_lshr_b32 s61, s82, 24                                    // 000000010978: 8F3D9852
	s_and_b32 s82, s82, 0xffffff                               // 00000001097C: 8652FF52 00FFFFFF
	s_mul_i32 s82, s82, s71                                    // 000000010984: 92524752
	s_mul_i32 s61, s60, s61                                    // 000000010988: 923D3D3C
	s_add_u32 s82, s82, s61                                    // 00000001098C: 80523D52
	v_mul_lo_u32 v7, v4, s82                                   // 000000010990: D2850007 0000A504
	v_add_u32_e32 v67, v6, v7                                  // 000000010998: 68860F06
	v_readlane_b32 s82, v3, 4                                  // 00000001099C: D2890052 00010903
	s_lshr_b32 s61, s82, 24                                    // 0000000109A4: 8F3D9852
	s_and_b32 s82, s82, 0xffffff                               // 0000000109A8: 8652FF52 00FFFFFF
	s_mul_i32 s82, s82, s71                                    // 0000000109B0: 92524752
	s_mul_i32 s61, s60, s61                                    // 0000000109B4: 923D3D3C
	s_add_u32 s82, s82, s61                                    // 0000000109B8: 80523D52
	v_mul_lo_u32 v6, v5, s82                                   // 0000000109BC: D2850006 0000A505
	v_readlane_b32 s82, v3, 5                                  // 0000000109C4: D2890052 00010B03
	s_lshr_b32 s61, s82, 24                                    // 0000000109CC: 8F3D9852
	s_and_b32 s82, s82, 0xffffff                               // 0000000109D0: 8652FF52 00FFFFFF
	s_mul_i32 s82, s82, s71                                    // 0000000109D8: 92524752
	s_mul_i32 s61, s60, s61                                    // 0000000109DC: 923D3D3C
	s_add_u32 s82, s82, s61                                    // 0000000109E0: 80523D52
	v_mul_lo_u32 v7, v4, s82                                   // 0000000109E4: D2850007 0000A504
	v_add_u32_e32 v68, v6, v7                                  // 0000000109EC: 68880F06
	v_readlane_b32 s82, v3, 6                                  // 0000000109F0: D2890052 00010D03
	s_lshr_b32 s61, s82, 24                                    // 0000000109F8: 8F3D9852
	s_and_b32 s82, s82, 0xffffff                               // 0000000109FC: 8652FF52 00FFFFFF
	s_mul_i32 s82, s82, s71                                    // 000000010A04: 92524752
	s_mul_i32 s61, s60, s61                                    // 000000010A08: 923D3D3C
	s_add_u32 s82, s82, s61                                    // 000000010A0C: 80523D52
	v_mul_lo_u32 v6, v5, s82                                   // 000000010A10: D2850006 0000A505
	v_readlane_b32 s82, v3, 7                                  // 000000010A18: D2890052 00010F03
	s_lshr_b32 s61, s82, 24                                    // 000000010A20: 8F3D9852
	s_and_b32 s82, s82, 0xffffff                               // 000000010A24: 8652FF52 00FFFFFF
	s_mul_i32 s82, s82, s71                                    // 000000010A2C: 92524752
	s_mul_i32 s61, s60, s61                                    // 000000010A30: 923D3D3C
	s_add_u32 s82, s82, s61                                    // 000000010A34: 80523D52
	v_mul_lo_u32 v7, v4, s82                                   // 000000010A38: D2850007 0000A504
	v_add_u32_e32 v69, v6, v7                                  // 000000010A40: 688A0F06
	v_readlane_b32 s82, v3, 8                                  // 000000010A44: D2890052 00011103
	s_lshr_b32 s61, s82, 24                                    // 000000010A4C: 8F3D9852
	s_and_b32 s82, s82, 0xffffff                               // 000000010A50: 8652FF52 00FFFFFF
	s_mul_i32 s82, s82, s71                                    // 000000010A58: 92524752
	s_mul_i32 s61, s60, s61                                    // 000000010A5C: 923D3D3C
	s_add_u32 s82, s82, s61                                    // 000000010A60: 80523D52
	v_mul_lo_u32 v6, v5, s82                                   // 000000010A64: D2850006 0000A505
	v_readlane_b32 s82, v3, 9                                  // 000000010A6C: D2890052 00011303
	s_lshr_b32 s61, s82, 24                                    // 000000010A74: 8F3D9852
	s_and_b32 s82, s82, 0xffffff                               // 000000010A78: 8652FF52 00FFFFFF
	s_mul_i32 s82, s82, s71                                    // 000000010A80: 92524752
	s_mul_i32 s61, s60, s61                                    // 000000010A84: 923D3D3C
	s_add_u32 s82, s82, s61                                    // 000000010A88: 80523D52
	v_mul_lo_u32 v7, v4, s82                                   // 000000010A8C: D2850007 0000A504
	v_add_u32_e32 v70, v6, v7                                  // 000000010A94: 688C0F06
	v_readlane_b32 s82, v3, 10                                 // 000000010A98: D2890052 00011503
	s_lshr_b32 s61, s82, 24                                    // 000000010AA0: 8F3D9852
	s_and_b32 s82, s82, 0xffffff                               // 000000010AA4: 8652FF52 00FFFFFF
	s_mul_i32 s82, s82, s71                                    // 000000010AAC: 92524752
	s_mul_i32 s61, s60, s61                                    // 000000010AB0: 923D3D3C
	s_add_u32 s82, s82, s61                                    // 000000010AB4: 80523D52
	v_mul_lo_u32 v6, v5, s82                                   // 000000010AB8: D2850006 0000A505
	v_readlane_b32 s82, v3, 11                                 // 000000010AC0: D2890052 00011703
	s_lshr_b32 s61, s82, 24                                    // 000000010AC8: 8F3D9852
	s_and_b32 s82, s82, 0xffffff                               // 000000010ACC: 8652FF52 00FFFFFF
	s_mul_i32 s82, s82, s71                                    // 000000010AD4: 92524752
	s_mul_i32 s61, s60, s61                                    // 000000010AD8: 923D3D3C
	s_add_u32 s82, s82, s61                                    // 000000010ADC: 80523D52
	v_mul_lo_u32 v7, v4, s82                                   // 000000010AE0: D2850007 0000A504
	v_add_u32_e32 v71, v6, v7                                  // 000000010AE8: 688E0F06
	v_readlane_b32 s82, v3, 12                                 // 000000010AEC: D2890052 00011903
	s_lshr_b32 s61, s82, 24                                    // 000000010AF4: 8F3D9852
	s_and_b32 s82, s82, 0xffffff                               // 000000010AF8: 8652FF52 00FFFFFF
	s_mul_i32 s82, s82, s71                                    // 000000010B00: 92524752
	s_mul_i32 s61, s60, s61                                    // 000000010B04: 923D3D3C
	s_add_u32 s82, s82, s61                                    // 000000010B08: 80523D52
	v_mul_lo_u32 v6, v5, s82                                   // 000000010B0C: D2850006 0000A505
	v_readlane_b32 s82, v3, 13                                 // 000000010B14: D2890052 00011B03
	s_lshr_b32 s61, s82, 24                                    // 000000010B1C: 8F3D9852
	s_and_b32 s82, s82, 0xffffff                               // 000000010B20: 8652FF52 00FFFFFF
	s_mul_i32 s82, s82, s71                                    // 000000010B28: 92524752
	s_mul_i32 s61, s60, s61                                    // 000000010B2C: 923D3D3C
	s_add_u32 s82, s82, s61                                    // 000000010B30: 80523D52
	v_mul_lo_u32 v7, v4, s82                                   // 000000010B34: D2850007 0000A504
	v_add_u32_e32 v72, v6, v7                                  // 000000010B3C: 68900F06
	v_readlane_b32 s82, v3, 14                                 // 000000010B40: D2890052 00011D03
	s_lshr_b32 s61, s82, 24                                    // 000000010B48: 8F3D9852
	s_and_b32 s82, s82, 0xffffff                               // 000000010B4C: 8652FF52 00FFFFFF
	s_mul_i32 s82, s82, s71                                    // 000000010B54: 92524752
	s_mul_i32 s61, s60, s61                                    // 000000010B58: 923D3D3C
	s_add_u32 s82, s82, s61                                    // 000000010B5C: 80523D52
	v_mul_lo_u32 v6, v5, s82                                   // 000000010B60: D2850006 0000A505
	v_readlane_b32 s82, v3, 15                                 // 000000010B68: D2890052 00011F03
	s_lshr_b32 s61, s82, 24                                    // 000000010B70: 8F3D9852
	s_and_b32 s82, s82, 0xffffff                               // 000000010B74: 8652FF52 00FFFFFF
	s_mul_i32 s82, s82, s71                                    // 000000010B7C: 92524752
	s_mul_i32 s61, s60, s61                                    // 000000010B80: 923D3D3C
	s_add_u32 s82, s82, s61                                    // 000000010B84: 80523D52
	v_mul_lo_u32 v7, v4, s82                                   // 000000010B88: D2850007 0000A504
	v_add_u32_e32 v73, v6, v7                                  // 000000010B90: 68920F06
	v_readlane_b32 s82, v3, 16                                 // 000000010B94: D2890052 00012103
	s_lshr_b32 s61, s82, 24                                    // 000000010B9C: 8F3D9852
	s_and_b32 s82, s82, 0xffffff                               // 000000010BA0: 8652FF52 00FFFFFF
	s_mul_i32 s82, s82, s71                                    // 000000010BA8: 92524752
	s_mul_i32 s61, s60, s61                                    // 000000010BAC: 923D3D3C
	s_add_u32 s82, s82, s61                                    // 000000010BB0: 80523D52
	v_mul_lo_u32 v6, v5, s82                                   // 000000010BB4: D2850006 0000A505
	v_readlane_b32 s82, v3, 17                                 // 000000010BBC: D2890052 00012303
	s_lshr_b32 s61, s82, 24                                    // 000000010BC4: 8F3D9852
	s_and_b32 s82, s82, 0xffffff                               // 000000010BC8: 8652FF52 00FFFFFF
	s_mul_i32 s82, s82, s71                                    // 000000010BD0: 92524752
	s_mul_i32 s61, s60, s61                                    // 000000010BD4: 923D3D3C
	s_add_u32 s82, s82, s61                                    // 000000010BD8: 80523D52
	v_mul_lo_u32 v7, v4, s82                                   // 000000010BDC: D2850007 0000A504
	v_add_u32_e32 v74, v6, v7                                  // 000000010BE4: 68940F06
	v_readlane_b32 s82, v3, 18                                 // 000000010BE8: D2890052 00012503
	s_lshr_b32 s61, s82, 24                                    // 000000010BF0: 8F3D9852
	s_and_b32 s82, s82, 0xffffff                               // 000000010BF4: 8652FF52 00FFFFFF
	s_mul_i32 s82, s82, s71                                    // 000000010BFC: 92524752
	s_mul_i32 s61, s60, s61                                    // 000000010C00: 923D3D3C
	s_add_u32 s82, s82, s61                                    // 000000010C04: 80523D52
	v_mul_lo_u32 v6, v5, s82                                   // 000000010C08: D2850006 0000A505
	v_readlane_b32 s82, v3, 19                                 // 000000010C10: D2890052 00012703
	s_lshr_b32 s61, s82, 24                                    // 000000010C18: 8F3D9852
	s_and_b32 s82, s82, 0xffffff                               // 000000010C1C: 8652FF52 00FFFFFF
	s_mul_i32 s82, s82, s71                                    // 000000010C24: 92524752
	s_mul_i32 s61, s60, s61                                    // 000000010C28: 923D3D3C
	s_add_u32 s82, s82, s61                                    // 000000010C2C: 80523D52
	v_mul_lo_u32 v7, v4, s82                                   // 000000010C30: D2850007 0000A504
	v_add_u32_e32 v75, v6, v7                                  // 000000010C38: 68960F06
	v_readlane_b32 s82, v3, 20                                 // 000000010C3C: D2890052 00012903
	s_lshr_b32 s61, s82, 24                                    // 000000010C44: 8F3D9852
	s_and_b32 s82, s82, 0xffffff                               // 000000010C48: 8652FF52 00FFFFFF
	s_mul_i32 s82, s82, s71                                    // 000000010C50: 92524752
	s_mul_i32 s61, s60, s61                                    // 000000010C54: 923D3D3C
	s_add_u32 s82, s82, s61                                    // 000000010C58: 80523D52
	v_mul_lo_u32 v6, v5, s82                                   // 000000010C5C: D2850006 0000A505
	v_readlane_b32 s82, v3, 21                                 // 000000010C64: D2890052 00012B03
	s_lshr_b32 s61, s82, 24                                    // 000000010C6C: 8F3D9852
	s_and_b32 s82, s82, 0xffffff                               // 000000010C70: 8652FF52 00FFFFFF
	s_mul_i32 s82, s82, s71                                    // 000000010C78: 92524752
	s_mul_i32 s61, s60, s61                                    // 000000010C7C: 923D3D3C
	s_add_u32 s82, s82, s61                                    // 000000010C80: 80523D52
	v_mul_lo_u32 v7, v4, s82                                   // 000000010C84: D2850007 0000A504
	v_add_u32_e32 v76, v6, v7                                  // 000000010C8C: 68980F06
	v_readlane_b32 s82, v3, 22                                 // 000000010C90: D2890052 00012D03
	s_lshr_b32 s61, s82, 24                                    // 000000010C98: 8F3D9852
	s_and_b32 s82, s82, 0xffffff                               // 000000010C9C: 8652FF52 00FFFFFF
	s_mul_i32 s82, s82, s71                                    // 000000010CA4: 92524752
	s_mul_i32 s61, s60, s61                                    // 000000010CA8: 923D3D3C
	s_add_u32 s82, s82, s61                                    // 000000010CAC: 80523D52
	v_mul_lo_u32 v6, v5, s82                                   // 000000010CB0: D2850006 0000A505
	v_readlane_b32 s82, v3, 23                                 // 000000010CB8: D2890052 00012F03
	s_lshr_b32 s61, s82, 24                                    // 000000010CC0: 8F3D9852
	s_and_b32 s82, s82, 0xffffff                               // 000000010CC4: 8652FF52 00FFFFFF
	s_mul_i32 s82, s82, s71                                    // 000000010CCC: 92524752
	s_mul_i32 s61, s60, s61                                    // 000000010CD0: 923D3D3C
	s_add_u32 s82, s82, s61                                    // 000000010CD4: 80523D52
	v_mul_lo_u32 v7, v4, s82                                   // 000000010CD8: D2850007 0000A504
	v_add_u32_e32 v77, v6, v7                                  // 000000010CE0: 689A0F06
	v_readlane_b32 s82, v3, 24                                 // 000000010CE4: D2890052 00013103
	s_lshr_b32 s61, s82, 24                                    // 000000010CEC: 8F3D9852
	s_and_b32 s82, s82, 0xffffff                               // 000000010CF0: 8652FF52 00FFFFFF
	s_mul_i32 s82, s82, s71                                    // 000000010CF8: 92524752
	s_mul_i32 s61, s60, s61                                    // 000000010CFC: 923D3D3C
	s_add_u32 s82, s82, s61                                    // 000000010D00: 80523D52
	v_mul_lo_u32 v6, v5, s82                                   // 000000010D04: D2850006 0000A505
	v_readlane_b32 s82, v3, 25                                 // 000000010D0C: D2890052 00013303
	s_lshr_b32 s61, s82, 24                                    // 000000010D14: 8F3D9852
	s_and_b32 s82, s82, 0xffffff                               // 000000010D18: 8652FF52 00FFFFFF
	s_mul_i32 s82, s82, s71                                    // 000000010D20: 92524752
	s_mul_i32 s61, s60, s61                                    // 000000010D24: 923D3D3C
	s_add_u32 s82, s82, s61                                    // 000000010D28: 80523D52
	v_mul_lo_u32 v7, v4, s82                                   // 000000010D2C: D2850007 0000A504
	v_add_u32_e32 v78, v6, v7                                  // 000000010D34: 689C0F06
	v_readlane_b32 s82, v3, 26                                 // 000000010D38: D2890052 00013503
	s_lshr_b32 s61, s82, 24                                    // 000000010D40: 8F3D9852
	s_and_b32 s82, s82, 0xffffff                               // 000000010D44: 8652FF52 00FFFFFF
	s_mul_i32 s82, s82, s71                                    // 000000010D4C: 92524752
	s_mul_i32 s61, s60, s61                                    // 000000010D50: 923D3D3C
	s_add_u32 s82, s82, s61                                    // 000000010D54: 80523D52
	v_mul_lo_u32 v6, v5, s82                                   // 000000010D58: D2850006 0000A505
	v_readlane_b32 s82, v3, 27                                 // 000000010D60: D2890052 00013703
	s_lshr_b32 s61, s82, 24                                    // 000000010D68: 8F3D9852
	s_and_b32 s82, s82, 0xffffff                               // 000000010D6C: 8652FF52 00FFFFFF
	s_mul_i32 s82, s82, s71                                    // 000000010D74: 92524752
	s_mul_i32 s61, s60, s61                                    // 000000010D78: 923D3D3C
	s_add_u32 s82, s82, s61                                    // 000000010D7C: 80523D52
	v_mul_lo_u32 v7, v4, s82                                   // 000000010D80: D2850007 0000A504
	v_add_u32_e32 v79, v6, v7                                  // 000000010D88: 689E0F06
	v_readlane_b32 s82, v3, 28                                 // 000000010D8C: D2890052 00013903
	s_lshr_b32 s61, s82, 24                                    // 000000010D94: 8F3D9852
	s_and_b32 s82, s82, 0xffffff                               // 000000010D98: 8652FF52 00FFFFFF
	s_mul_i32 s82, s82, s71                                    // 000000010DA0: 92524752
	s_mul_i32 s61, s60, s61                                    // 000000010DA4: 923D3D3C
	s_add_u32 s82, s82, s61                                    // 000000010DA8: 80523D52
	v_mul_lo_u32 v6, v5, s82                                   // 000000010DAC: D2850006 0000A505
	v_readlane_b32 s82, v3, 29                                 // 000000010DB4: D2890052 00013B03
	s_lshr_b32 s61, s82, 24                                    // 000000010DBC: 8F3D9852
	s_and_b32 s82, s82, 0xffffff                               // 000000010DC0: 8652FF52 00FFFFFF
	s_mul_i32 s82, s82, s71                                    // 000000010DC8: 92524752
	s_mul_i32 s61, s60, s61                                    // 000000010DCC: 923D3D3C
	s_add_u32 s82, s82, s61                                    // 000000010DD0: 80523D52
	v_mul_lo_u32 v7, v4, s82                                   // 000000010DD4: D2850007 0000A504
	v_add_u32_e32 v80, v6, v7                                  // 000000010DDC: 68A00F06
	v_readlane_b32 s82, v3, 30                                 // 000000010DE0: D2890052 00013D03
	s_lshr_b32 s61, s82, 24                                    // 000000010DE8: 8F3D9852
	s_and_b32 s82, s82, 0xffffff                               // 000000010DEC: 8652FF52 00FFFFFF
	s_mul_i32 s82, s82, s71                                    // 000000010DF4: 92524752
	s_mul_i32 s61, s60, s61                                    // 000000010DF8: 923D3D3C
	s_add_u32 s82, s82, s61                                    // 000000010DFC: 80523D52
	v_mul_lo_u32 v6, v5, s82                                   // 000000010E00: D2850006 0000A505
	v_readlane_b32 s82, v3, 31                                 // 000000010E08: D2890052 00013F03
	s_lshr_b32 s61, s82, 24                                    // 000000010E10: 8F3D9852
	s_and_b32 s82, s82, 0xffffff                               // 000000010E14: 8652FF52 00FFFFFF
	s_mul_i32 s82, s82, s71                                    // 000000010E1C: 92524752
	s_mul_i32 s61, s60, s61                                    // 000000010E20: 923D3D3C
	s_add_u32 s82, s82, s61                                    // 000000010E24: 80523D52
	v_mul_lo_u32 v7, v4, s82                                   // 000000010E28: D2850007 0000A504
	v_add_u32_e32 v81, v6, v7                                  // 000000010E30: 68A20F06
	v_readlane_b32 s82, v3, 32                                 // 000000010E34: D2890052 00014103
	s_lshr_b32 s61, s82, 24                                    // 000000010E3C: 8F3D9852
	s_and_b32 s82, s82, 0xffffff                               // 000000010E40: 8652FF52 00FFFFFF
	s_mul_i32 s82, s82, s71                                    // 000000010E48: 92524752
	s_mul_i32 s61, s60, s61                                    // 000000010E4C: 923D3D3C
	s_add_u32 s82, s82, s61                                    // 000000010E50: 80523D52
	v_mul_lo_u32 v6, v5, s82                                   // 000000010E54: D2850006 0000A505
	v_readlane_b32 s82, v3, 33                                 // 000000010E5C: D2890052 00014303
	s_lshr_b32 s61, s82, 24                                    // 000000010E64: 8F3D9852
	s_and_b32 s82, s82, 0xffffff                               // 000000010E68: 8652FF52 00FFFFFF
	s_mul_i32 s82, s82, s71                                    // 000000010E70: 92524752
	s_mul_i32 s61, s60, s61                                    // 000000010E74: 923D3D3C
	s_add_u32 s82, s82, s61                                    // 000000010E78: 80523D52
	v_mul_lo_u32 v7, v4, s82                                   // 000000010E7C: D2850007 0000A504
	v_add_u32_e32 v82, v6, v7                                  // 000000010E84: 68A40F06
	v_readlane_b32 s82, v3, 34                                 // 000000010E88: D2890052 00014503
	s_lshr_b32 s61, s82, 24                                    // 000000010E90: 8F3D9852
	s_and_b32 s82, s82, 0xffffff                               // 000000010E94: 8652FF52 00FFFFFF
	s_mul_i32 s82, s82, s71                                    // 000000010E9C: 92524752
	s_mul_i32 s61, s60, s61                                    // 000000010EA0: 923D3D3C
	s_add_u32 s82, s82, s61                                    // 000000010EA4: 80523D52
	v_mul_lo_u32 v6, v5, s82                                   // 000000010EA8: D2850006 0000A505
	v_readlane_b32 s82, v3, 35                                 // 000000010EB0: D2890052 00014703
	s_lshr_b32 s61, s82, 24                                    // 000000010EB8: 8F3D9852
	s_and_b32 s82, s82, 0xffffff                               // 000000010EBC: 8652FF52 00FFFFFF
	s_mul_i32 s82, s82, s71                                    // 000000010EC4: 92524752
	s_mul_i32 s61, s60, s61                                    // 000000010EC8: 923D3D3C
	s_add_u32 s82, s82, s61                                    // 000000010ECC: 80523D52
	v_mul_lo_u32 v7, v4, s82                                   // 000000010ED0: D2850007 0000A504
	v_add_u32_e32 v83, v6, v7                                  // 000000010ED8: 68A60F06
	v_and_b32_e32 v4, 31, v0                                   // 000000010EDC: 2608009F
	v_lshrrev_b32_e32 v4, 1, v4                                // 000000010EE0: 20080881
	s_cmp_eq_u32 s88, 0                                        // 000000010EE4: BF068058
	s_cselect_b32 s61, 2, 4                                    // 000000010EE8: 853D8482
	v_mul_lo_u32 v4, v4, s61                                   // 000000010EEC: D2850004 00007B04
	v_and_b32_e64 v5, v0, 1                                    // 000000010EF4: D1130005 00010300
	v_add_u32_e32 v4, v4, v5                                   // 000000010EFC: 68080B04
	v_lshlrev_b32_e32 v4, 2, v4                                // 000000010F00: 24080882
	v_add_u32_e32 v66, v66, v4                                 // 000000010F04: 68840942
	v_add_u32_e32 v67, v67, v4                                 // 000000010F08: 68860943
	v_add_u32_e32 v68, v68, v4                                 // 000000010F0C: 68880944
	v_add_u32_e32 v69, v69, v4                                 // 000000010F10: 688A0945
	v_add_u32_e32 v70, v70, v4                                 // 000000010F14: 688C0946
	v_add_u32_e32 v71, v71, v4                                 // 000000010F18: 688E0947
	v_add_u32_e32 v72, v72, v4                                 // 000000010F1C: 68900948
	v_add_u32_e32 v73, v73, v4                                 // 000000010F20: 68920949
	v_add_u32_e32 v74, v74, v4                                 // 000000010F24: 6894094A
	v_add_u32_e32 v75, v75, v4                                 // 000000010F28: 6896094B
	v_add_u32_e32 v76, v76, v4                                 // 000000010F2C: 6898094C
	v_add_u32_e32 v77, v77, v4                                 // 000000010F30: 689A094D
	v_add_u32_e32 v78, v78, v4                                 // 000000010F34: 689C094E
	v_add_u32_e32 v79, v79, v4                                 // 000000010F38: 689E094F
	v_add_u32_e32 v80, v80, v4                                 // 000000010F3C: 68A00950
	v_add_u32_e32 v81, v81, v4                                 // 000000010F40: 68A20951
	v_add_u32_e32 v82, v82, v4                                 // 000000010F44: 68A40952
	v_add_u32_e32 v83, v83, v4                                 // 000000010F48: 68A60953
	s_waitcnt lgkmcnt(0)                                       // 000000010F4C: BF8CC07F
	s_barrier                                                  // 000000010F50: BF8A0000
	ds_read_b32 v88, v21                                       // 000000010F54: D86C0000 58000015
	ds_read_b32 v89, v21 offset:64                             // 000000010F5C: D86C0040 59000015
	ds_read_b32 v90, v21 offset:2176                           // 000000010F64: D86C0880 5A000015
	ds_read_b32 v91, v21 offset:2240                           // 000000010F6C: D86C08C0 5B000015
	ds_read_b32 v92, v21 offset:4352                           // 000000010F74: D86C1100 5C000015
	ds_read_b32 v93, v21 offset:4416                           // 000000010F7C: D86C1140 5D000015
	ds_read_b32 v94, v21 offset:6528                           // 000000010F84: D86C1980 5E000015
	ds_read_b32 v95, v21 offset:6592                           // 000000010F8C: D86C19C0 5F000015
	ds_read_b32 v96, v21 offset:8704                           // 000000010F94: D86C2200 60000015
	ds_read_b32 v97, v21 offset:8768                           // 000000010F9C: D86C2240 61000015
	ds_read_b32 v98, v21 offset:10880                          // 000000010FA4: D86C2A80 62000015
	ds_read_b32 v99, v21 offset:10944                          // 000000010FAC: D86C2AC0 63000015
	ds_read_b32 v100, v21 offset:13056                         // 000000010FB4: D86C3300 64000015
	ds_read_b32 v101, v21 offset:13120                         // 000000010FBC: D86C3340 65000015
	ds_read_b32 v102, v21 offset:15232                         // 000000010FC4: D86C3B80 66000015
	ds_read_b32 v103, v21 offset:15296                         // 000000010FCC: D86C3BC0 67000015
	ds_read_b32 v104, v21 offset:17408                         // 000000010FD4: D86C4400 68000015
	ds_read_b32 v105, v21 offset:17472                         // 000000010FDC: D86C4440 69000015
	ds_read_b32 v106, v21 offset:19584                         // 000000010FE4: D86C4C80 6A000015
	ds_read_b32 v107, v21 offset:19648                         // 000000010FEC: D86C4CC0 6B000015
	ds_read_b32 v108, v21 offset:21760                         // 000000010FF4: D86C5500 6C000015
	ds_read_b32 v109, v21 offset:21824                         // 000000010FFC: D86C5540 6D000015
	ds_read_b32 v110, v21 offset:23936                         // 000000011004: D86C5D80 6E000015
	ds_read_b32 v111, v21 offset:24000                         // 00000001100C: D86C5DC0 6F000015
	ds_read_b32 v112, v21 offset:26112                         // 000000011014: D86C6600 70000015
	ds_read_b32 v113, v21 offset:26176                         // 00000001101C: D86C6640 71000015
	ds_read_b32 v114, v21 offset:28288                         // 000000011024: D86C6E80 72000015
	ds_read_b32 v115, v21 offset:28352                         // 00000001102C: D86C6EC0 73000015
	ds_read_b32 v116, v21 offset:30464                         // 000000011034: D86C7700 74000015
	ds_read_b32 v117, v21 offset:30528                         // 00000001103C: D86C7740 75000015
	ds_read_b32 v118, v21 offset:32640                         // 000000011044: D86C7F80 76000015
	ds_read_b32 v119, v21 offset:32704                         // 00000001104C: D86C7FC0 77000015
	ds_read_b32 v120, v21 offset:34816                         // 000000011054: D86C8800 78000015
	ds_read_b32 v121, v21 offset:34880                         // 00000001105C: D86C8840 79000015
	ds_read_b32 v122, v21 offset:36992                         // 000000011064: D86C9080 7A000015
	ds_read_b32 v123, v21 offset:37056                         // 00000001106C: D86C90C0 7B000015
	s_waitcnt lgkmcnt(0)                                       // 000000011074: BF8CC07F
	s_mov_b32 s36, -1                                          // 000000011078: BEA400C1
	s_mov_b32 s37, -1                                          // 00000001107C: BEA500C1
	v_mov_b32_e32 v7, 0                                        // 000000011080: 7E0E0280
	s_or_b32 s9, s9, 0x40000                                   // 000000011084: 8709FF09 00040000
	s_mov_b64 exec, s[36:37]                                   // 00000001108C: BEFE0124
	v_mov_b32_e32 v6, v66                                      // 000000011090: 7E0C0342
	s_mov_b64 s[60:61], 0                                      // 000000011094: BEBC0180
	v_readlane_b32 s82, v3, 0                                  // 000000011098: D2890052 00010103
	s_and_b32 s82, s82, 0xffffff                               // 0000000110A0: 8652FF52 00FFFFFF
	s_cmp_lt_u32 s82, s66                                      // 0000000110A8: BF0A4252
	s_cselect_b32 s20, s36, s60                                // 0000000110AC: 85143C24
	v_readlane_b32 s82, v3, 1                                  // 0000000110B0: D2890052 00010303
	s_and_b32 s82, s82, 0xffffff                               // 0000000110B8: 8652FF52 00FFFFFF
	s_cmp_lt_u32 s82, s66                                      // 0000000110C0: BF0A4252
	s_cselect_b32 s21, s36, s60                                // 0000000110C4: 85153C24
	s_mov_b64 exec, s[20:21]                                   // 0000000110C8: BEFE0114
	buffer_store_dword v88, v6, s[8:11], 0 offen               // 0000000110CC: E0701000 80025806
	buffer_store_dword v90, v6, s[8:11], 0 offen offset:128    // 0000000110D4: E0701080 80025A06
	s_mov_b64 exec, s[36:37]                                   // 0000000110DC: BEFE0124
	v_mov_b32_e32 v6, v67                                      // 0000000110E0: 7E0C0343
	s_mov_b64 s[60:61], 0                                      // 0000000110E4: BEBC0180
	v_readlane_b32 s82, v3, 2                                  // 0000000110E8: D2890052 00010503
	s_and_b32 s82, s82, 0xffffff                               // 0000000110F0: 8652FF52 00FFFFFF
	s_cmp_lt_u32 s82, s66                                      // 0000000110F8: BF0A4252
	s_cselect_b32 s20, s36, s60                                // 0000000110FC: 85143C24
	v_readlane_b32 s82, v3, 3                                  // 000000011100: D2890052 00010703
	s_and_b32 s82, s82, 0xffffff                               // 000000011108: 8652FF52 00FFFFFF
	s_cmp_lt_u32 s82, s66                                      // 000000011110: BF0A4252
	s_cselect_b32 s21, s36, s60                                // 000000011114: 85153C24
	s_mov_b64 exec, s[20:21]                                   // 000000011118: BEFE0114
	buffer_store_dword v89, v6, s[8:11], 0 offen               // 00000001111C: E0701000 80025906
	buffer_store_dword v91, v6, s[8:11], 0 offen offset:128    // 000000011124: E0701080 80025B06
	s_mov_b64 exec, s[36:37]                                   // 00000001112C: BEFE0124
	v_mov_b32_e32 v6, v68                                      // 000000011130: 7E0C0344
	s_mov_b64 s[60:61], 0                                      // 000000011134: BEBC0180
	v_readlane_b32 s82, v3, 4                                  // 000000011138: D2890052 00010903
	s_and_b32 s82, s82, 0xffffff                               // 000000011140: 8652FF52 00FFFFFF
	s_cmp_lt_u32 s82, s66                                      // 000000011148: BF0A4252
	s_cselect_b32 s20, s36, s60                                // 00000001114C: 85143C24
	v_readlane_b32 s82, v3, 5                                  // 000000011150: D2890052 00010B03
	s_and_b32 s82, s82, 0xffffff                               // 000000011158: 8652FF52 00FFFFFF
	s_cmp_lt_u32 s82, s66                                      // 000000011160: BF0A4252
	s_cselect_b32 s21, s36, s60                                // 000000011164: 85153C24
	s_mov_b64 exec, s[20:21]                                   // 000000011168: BEFE0114
	buffer_store_dword v92, v6, s[8:11], 0 offen               // 00000001116C: E0701000 80025C06
	buffer_store_dword v94, v6, s[8:11], 0 offen offset:128    // 000000011174: E0701080 80025E06
	s_mov_b64 exec, s[36:37]                                   // 00000001117C: BEFE0124
	v_mov_b32_e32 v6, v69                                      // 000000011180: 7E0C0345
	s_mov_b64 s[60:61], 0                                      // 000000011184: BEBC0180
	v_readlane_b32 s82, v3, 6                                  // 000000011188: D2890052 00010D03
	s_and_b32 s82, s82, 0xffffff                               // 000000011190: 8652FF52 00FFFFFF
	s_cmp_lt_u32 s82, s66                                      // 000000011198: BF0A4252
	s_cselect_b32 s20, s36, s60                                // 00000001119C: 85143C24
	v_readlane_b32 s82, v3, 7                                  // 0000000111A0: D2890052 00010F03
	s_and_b32 s82, s82, 0xffffff                               // 0000000111A8: 8652FF52 00FFFFFF
	s_cmp_lt_u32 s82, s66                                      // 0000000111B0: BF0A4252
	s_cselect_b32 s21, s36, s60                                // 0000000111B4: 85153C24
	s_mov_b64 exec, s[20:21]                                   // 0000000111B8: BEFE0114
	buffer_store_dword v93, v6, s[8:11], 0 offen               // 0000000111BC: E0701000 80025D06
	buffer_store_dword v95, v6, s[8:11], 0 offen offset:128    // 0000000111C4: E0701080 80025F06
	s_mov_b64 exec, s[36:37]                                   // 0000000111CC: BEFE0124
	v_mov_b32_e32 v6, v70                                      // 0000000111D0: 7E0C0346
	s_mov_b64 s[60:61], 0                                      // 0000000111D4: BEBC0180
	v_readlane_b32 s82, v3, 8                                  // 0000000111D8: D2890052 00011103
	s_and_b32 s82, s82, 0xffffff                               // 0000000111E0: 8652FF52 00FFFFFF
	s_cmp_lt_u32 s82, s66                                      // 0000000111E8: BF0A4252
	s_cselect_b32 s20, s36, s60                                // 0000000111EC: 85143C24
	v_readlane_b32 s82, v3, 9                                  // 0000000111F0: D2890052 00011303
	s_and_b32 s82, s82, 0xffffff                               // 0000000111F8: 8652FF52 00FFFFFF
	s_cmp_lt_u32 s82, s66                                      // 000000011200: BF0A4252
	s_cselect_b32 s21, s36, s60                                // 000000011204: 85153C24
	s_mov_b64 exec, s[20:21]                                   // 000000011208: BEFE0114
	buffer_store_dword v96, v6, s[8:11], 0 offen               // 00000001120C: E0701000 80026006
	buffer_store_dword v98, v6, s[8:11], 0 offen offset:128    // 000000011214: E0701080 80026206
	s_mov_b64 exec, s[36:37]                                   // 00000001121C: BEFE0124
	v_mov_b32_e32 v6, v71                                      // 000000011220: 7E0C0347
	s_mov_b64 s[60:61], 0                                      // 000000011224: BEBC0180
	v_readlane_b32 s82, v3, 10                                 // 000000011228: D2890052 00011503
	s_and_b32 s82, s82, 0xffffff                               // 000000011230: 8652FF52 00FFFFFF
	s_cmp_lt_u32 s82, s66                                      // 000000011238: BF0A4252
	s_cselect_b32 s20, s36, s60                                // 00000001123C: 85143C24
	v_readlane_b32 s82, v3, 11                                 // 000000011240: D2890052 00011703
	s_and_b32 s82, s82, 0xffffff                               // 000000011248: 8652FF52 00FFFFFF
	s_cmp_lt_u32 s82, s66                                      // 000000011250: BF0A4252
	s_cselect_b32 s21, s36, s60                                // 000000011254: 85153C24
	s_mov_b64 exec, s[20:21]                                   // 000000011258: BEFE0114
	buffer_store_dword v97, v6, s[8:11], 0 offen               // 00000001125C: E0701000 80026106
	buffer_store_dword v99, v6, s[8:11], 0 offen offset:128    // 000000011264: E0701080 80026306
	s_mov_b64 exec, s[36:37]                                   // 00000001126C: BEFE0124
	v_mov_b32_e32 v6, v72                                      // 000000011270: 7E0C0348
	s_mov_b64 s[60:61], 0                                      // 000000011274: BEBC0180
	v_readlane_b32 s82, v3, 12                                 // 000000011278: D2890052 00011903
	s_and_b32 s82, s82, 0xffffff                               // 000000011280: 8652FF52 00FFFFFF
	s_cmp_lt_u32 s82, s66                                      // 000000011288: BF0A4252
	s_cselect_b32 s20, s36, s60                                // 00000001128C: 85143C24
	v_readlane_b32 s82, v3, 13                                 // 000000011290: D2890052 00011B03
	s_and_b32 s82, s82, 0xffffff                               // 000000011298: 8652FF52 00FFFFFF
	s_cmp_lt_u32 s82, s66                                      // 0000000112A0: BF0A4252
	s_cselect_b32 s21, s36, s60                                // 0000000112A4: 85153C24
	s_mov_b64 exec, s[20:21]                                   // 0000000112A8: BEFE0114
	buffer_store_dword v100, v6, s[8:11], 0 offen              // 0000000112AC: E0701000 80026406
	buffer_store_dword v102, v6, s[8:11], 0 offen offset:128   // 0000000112B4: E0701080 80026606
	s_mov_b64 exec, s[36:37]                                   // 0000000112BC: BEFE0124
	v_mov_b32_e32 v6, v73                                      // 0000000112C0: 7E0C0349
	s_mov_b64 s[60:61], 0                                      // 0000000112C4: BEBC0180
	v_readlane_b32 s82, v3, 14                                 // 0000000112C8: D2890052 00011D03
	s_and_b32 s82, s82, 0xffffff                               // 0000000112D0: 8652FF52 00FFFFFF
	s_cmp_lt_u32 s82, s66                                      // 0000000112D8: BF0A4252
	s_cselect_b32 s20, s36, s60                                // 0000000112DC: 85143C24
	v_readlane_b32 s82, v3, 15                                 // 0000000112E0: D2890052 00011F03
	s_and_b32 s82, s82, 0xffffff                               // 0000000112E8: 8652FF52 00FFFFFF
	s_cmp_lt_u32 s82, s66                                      // 0000000112F0: BF0A4252
	s_cselect_b32 s21, s36, s60                                // 0000000112F4: 85153C24
	s_mov_b64 exec, s[20:21]                                   // 0000000112F8: BEFE0114
	buffer_store_dword v101, v6, s[8:11], 0 offen              // 0000000112FC: E0701000 80026506
	buffer_store_dword v103, v6, s[8:11], 0 offen offset:128   // 000000011304: E0701080 80026706
	s_mov_b64 exec, s[36:37]                                   // 00000001130C: BEFE0124
	v_mov_b32_e32 v6, v74                                      // 000000011310: 7E0C034A
	s_mov_b64 s[60:61], 0                                      // 000000011314: BEBC0180
	v_readlane_b32 s82, v3, 16                                 // 000000011318: D2890052 00012103
	s_and_b32 s82, s82, 0xffffff                               // 000000011320: 8652FF52 00FFFFFF
	s_cmp_lt_u32 s82, s66                                      // 000000011328: BF0A4252
	s_cselect_b32 s20, s36, s60                                // 00000001132C: 85143C24
	v_readlane_b32 s82, v3, 17                                 // 000000011330: D2890052 00012303
	s_and_b32 s82, s82, 0xffffff                               // 000000011338: 8652FF52 00FFFFFF
	s_cmp_lt_u32 s82, s66                                      // 000000011340: BF0A4252
	s_cselect_b32 s21, s36, s60                                // 000000011344: 85153C24
	s_mov_b64 exec, s[20:21]                                   // 000000011348: BEFE0114
	buffer_store_dword v104, v6, s[8:11], 0 offen              // 00000001134C: E0701000 80026806
	buffer_store_dword v106, v6, s[8:11], 0 offen offset:128   // 000000011354: E0701080 80026A06
	s_mov_b64 exec, s[36:37]                                   // 00000001135C: BEFE0124
	v_mov_b32_e32 v6, v75                                      // 000000011360: 7E0C034B
	s_mov_b64 s[60:61], 0                                      // 000000011364: BEBC0180
	v_readlane_b32 s82, v3, 18                                 // 000000011368: D2890052 00012503
	s_and_b32 s82, s82, 0xffffff                               // 000000011370: 8652FF52 00FFFFFF
	s_cmp_lt_u32 s82, s66                                      // 000000011378: BF0A4252
	s_cselect_b32 s20, s36, s60                                // 00000001137C: 85143C24
	v_readlane_b32 s82, v3, 19                                 // 000000011380: D2890052 00012703
	s_and_b32 s82, s82, 0xffffff                               // 000000011388: 8652FF52 00FFFFFF
	s_cmp_lt_u32 s82, s66                                      // 000000011390: BF0A4252
	s_cselect_b32 s21, s36, s60                                // 000000011394: 85153C24
	s_mov_b64 exec, s[20:21]                                   // 000000011398: BEFE0114
	buffer_store_dword v105, v6, s[8:11], 0 offen              // 00000001139C: E0701000 80026906
	buffer_store_dword v107, v6, s[8:11], 0 offen offset:128   // 0000000113A4: E0701080 80026B06
	s_mov_b64 exec, s[36:37]                                   // 0000000113AC: BEFE0124
	v_mov_b32_e32 v6, v76                                      // 0000000113B0: 7E0C034C
	s_mov_b64 s[60:61], 0                                      // 0000000113B4: BEBC0180
	v_readlane_b32 s82, v3, 20                                 // 0000000113B8: D2890052 00012903
	s_and_b32 s82, s82, 0xffffff                               // 0000000113C0: 8652FF52 00FFFFFF
	s_cmp_lt_u32 s82, s66                                      // 0000000113C8: BF0A4252
	s_cselect_b32 s20, s36, s60                                // 0000000113CC: 85143C24
	v_readlane_b32 s82, v3, 21                                 // 0000000113D0: D2890052 00012B03
	s_and_b32 s82, s82, 0xffffff                               // 0000000113D8: 8652FF52 00FFFFFF
	s_cmp_lt_u32 s82, s66                                      // 0000000113E0: BF0A4252
	s_cselect_b32 s21, s36, s60                                // 0000000113E4: 85153C24
	s_mov_b64 exec, s[20:21]                                   // 0000000113E8: BEFE0114
	buffer_store_dword v108, v6, s[8:11], 0 offen              // 0000000113EC: E0701000 80026C06
	buffer_store_dword v110, v6, s[8:11], 0 offen offset:128   // 0000000113F4: E0701080 80026E06
	s_mov_b64 exec, s[36:37]                                   // 0000000113FC: BEFE0124
	v_mov_b32_e32 v6, v77                                      // 000000011400: 7E0C034D
	s_mov_b64 s[60:61], 0                                      // 000000011404: BEBC0180
	v_readlane_b32 s82, v3, 22                                 // 000000011408: D2890052 00012D03
	s_and_b32 s82, s82, 0xffffff                               // 000000011410: 8652FF52 00FFFFFF
	s_cmp_lt_u32 s82, s66                                      // 000000011418: BF0A4252
	s_cselect_b32 s20, s36, s60                                // 00000001141C: 85143C24
	v_readlane_b32 s82, v3, 23                                 // 000000011420: D2890052 00012F03
	s_and_b32 s82, s82, 0xffffff                               // 000000011428: 8652FF52 00FFFFFF
	s_cmp_lt_u32 s82, s66                                      // 000000011430: BF0A4252
	s_cselect_b32 s21, s36, s60                                // 000000011434: 85153C24
	s_mov_b64 exec, s[20:21]                                   // 000000011438: BEFE0114
	buffer_store_dword v109, v6, s[8:11], 0 offen              // 00000001143C: E0701000 80026D06
	buffer_store_dword v111, v6, s[8:11], 0 offen offset:128   // 000000011444: E0701080 80026F06
	s_mov_b64 exec, s[36:37]                                   // 00000001144C: BEFE0124
	v_mov_b32_e32 v6, v78                                      // 000000011450: 7E0C034E
	s_mov_b64 s[60:61], 0                                      // 000000011454: BEBC0180
	v_readlane_b32 s82, v3, 24                                 // 000000011458: D2890052 00013103
	s_and_b32 s82, s82, 0xffffff                               // 000000011460: 8652FF52 00FFFFFF
	s_cmp_lt_u32 s82, s66                                      // 000000011468: BF0A4252
	s_cselect_b32 s20, s36, s60                                // 00000001146C: 85143C24
	v_readlane_b32 s82, v3, 25                                 // 000000011470: D2890052 00013303
	s_and_b32 s82, s82, 0xffffff                               // 000000011478: 8652FF52 00FFFFFF
	s_cmp_lt_u32 s82, s66                                      // 000000011480: BF0A4252
	s_cselect_b32 s21, s36, s60                                // 000000011484: 85153C24
	s_mov_b64 exec, s[20:21]                                   // 000000011488: BEFE0114
	buffer_store_dword v112, v6, s[8:11], 0 offen              // 00000001148C: E0701000 80027006
	buffer_store_dword v114, v6, s[8:11], 0 offen offset:128   // 000000011494: E0701080 80027206
	s_mov_b64 exec, s[36:37]                                   // 00000001149C: BEFE0124
	v_mov_b32_e32 v6, v79                                      // 0000000114A0: 7E0C034F
	s_mov_b64 s[60:61], 0                                      // 0000000114A4: BEBC0180
	v_readlane_b32 s82, v3, 26                                 // 0000000114A8: D2890052 00013503
	s_and_b32 s82, s82, 0xffffff                               // 0000000114B0: 8652FF52 00FFFFFF
	s_cmp_lt_u32 s82, s66                                      // 0000000114B8: BF0A4252
	s_cselect_b32 s20, s36, s60                                // 0000000114BC: 85143C24
	v_readlane_b32 s82, v3, 27                                 // 0000000114C0: D2890052 00013703
	s_and_b32 s82, s82, 0xffffff                               // 0000000114C8: 8652FF52 00FFFFFF
	s_cmp_lt_u32 s82, s66                                      // 0000000114D0: BF0A4252
	s_cselect_b32 s21, s36, s60                                // 0000000114D4: 85153C24
	s_mov_b64 exec, s[20:21]                                   // 0000000114D8: BEFE0114
	buffer_store_dword v113, v6, s[8:11], 0 offen              // 0000000114DC: E0701000 80027106
	buffer_store_dword v115, v6, s[8:11], 0 offen offset:128   // 0000000114E4: E0701080 80027306
	s_mov_b64 exec, s[36:37]                                   // 0000000114EC: BEFE0124
	v_mov_b32_e32 v6, v80                                      // 0000000114F0: 7E0C0350
	s_mov_b64 s[60:61], 0                                      // 0000000114F4: BEBC0180
	v_readlane_b32 s82, v3, 28                                 // 0000000114F8: D2890052 00013903
	s_and_b32 s82, s82, 0xffffff                               // 000000011500: 8652FF52 00FFFFFF
	s_cmp_lt_u32 s82, s66                                      // 000000011508: BF0A4252
	s_cselect_b32 s20, s36, s60                                // 00000001150C: 85143C24
	v_readlane_b32 s82, v3, 29                                 // 000000011510: D2890052 00013B03
	s_and_b32 s82, s82, 0xffffff                               // 000000011518: 8652FF52 00FFFFFF
	s_cmp_lt_u32 s82, s66                                      // 000000011520: BF0A4252
	s_cselect_b32 s21, s36, s60                                // 000000011524: 85153C24
	s_mov_b64 exec, s[20:21]                                   // 000000011528: BEFE0114
	buffer_store_dword v116, v6, s[8:11], 0 offen              // 00000001152C: E0701000 80027406
	buffer_store_dword v118, v6, s[8:11], 0 offen offset:128   // 000000011534: E0701080 80027606
	s_mov_b64 exec, s[36:37]                                   // 00000001153C: BEFE0124
	v_mov_b32_e32 v6, v81                                      // 000000011540: 7E0C0351
	s_mov_b64 s[60:61], 0                                      // 000000011544: BEBC0180
	v_readlane_b32 s82, v3, 30                                 // 000000011548: D2890052 00013D03
	s_and_b32 s82, s82, 0xffffff                               // 000000011550: 8652FF52 00FFFFFF
	s_cmp_lt_u32 s82, s66                                      // 000000011558: BF0A4252
	s_cselect_b32 s20, s36, s60                                // 00000001155C: 85143C24
	v_readlane_b32 s82, v3, 31                                 // 000000011560: D2890052 00013F03
	s_and_b32 s82, s82, 0xffffff                               // 000000011568: 8652FF52 00FFFFFF
	s_cmp_lt_u32 s82, s66                                      // 000000011570: BF0A4252
	s_cselect_b32 s21, s36, s60                                // 000000011574: 85153C24
	s_mov_b64 exec, s[20:21]                                   // 000000011578: BEFE0114
	buffer_store_dword v117, v6, s[8:11], 0 offen              // 00000001157C: E0701000 80027506
	buffer_store_dword v119, v6, s[8:11], 0 offen offset:128   // 000000011584: E0701080 80027706
	s_mov_b64 exec, s[36:37]                                   // 00000001158C: BEFE0124
	v_mov_b32_e32 v6, v82                                      // 000000011590: 7E0C0352
	s_mov_b64 s[60:61], 0                                      // 000000011594: BEBC0180
	v_readlane_b32 s82, v3, 32                                 // 000000011598: D2890052 00014103
	s_and_b32 s82, s82, 0xffffff                               // 0000000115A0: 8652FF52 00FFFFFF
	s_cmp_lt_u32 s82, s66                                      // 0000000115A8: BF0A4252
	s_cselect_b32 s20, s36, s60                                // 0000000115AC: 85143C24
	v_readlane_b32 s82, v3, 33                                 // 0000000115B0: D2890052 00014303
	s_and_b32 s82, s82, 0xffffff                               // 0000000115B8: 8652FF52 00FFFFFF
	s_cmp_lt_u32 s82, s66                                      // 0000000115C0: BF0A4252
	s_cselect_b32 s21, s36, s60                                // 0000000115C4: 85153C24
	s_mov_b64 exec, s[20:21]                                   // 0000000115C8: BEFE0114
	buffer_store_dword v120, v6, s[8:11], 0 offen              // 0000000115CC: E0701000 80027806
	buffer_store_dword v122, v6, s[8:11], 0 offen offset:128   // 0000000115D4: E0701080 80027A06
	s_mov_b64 exec, s[36:37]                                   // 0000000115DC: BEFE0124
	v_mov_b32_e32 v6, v83                                      // 0000000115E0: 7E0C0353
	s_mov_b64 s[60:61], 0                                      // 0000000115E4: BEBC0180
	v_readlane_b32 s82, v3, 34                                 // 0000000115E8: D2890052 00014503
	s_and_b32 s82, s82, 0xffffff                               // 0000000115F0: 8652FF52 00FFFFFF
	s_cmp_lt_u32 s82, s66                                      // 0000000115F8: BF0A4252
	s_cselect_b32 s20, s36, s60                                // 0000000115FC: 85143C24
	v_readlane_b32 s82, v3, 35                                 // 000000011600: D2890052 00014703
	s_and_b32 s82, s82, 0xffffff                               // 000000011608: 8652FF52 00FFFFFF
	s_cmp_lt_u32 s82, s66                                      // 000000011610: BF0A4252
	s_cselect_b32 s21, s36, s60                                // 000000011614: 85153C24
	s_mov_b64 exec, s[20:21]                                   // 000000011618: BEFE0114
	buffer_store_dword v121, v6, s[8:11], 0 offen              // 00000001161C: E0701000 80027906
	buffer_store_dword v123, v6, s[8:11], 0 offen offset:128   // 000000011624: E0701080 80027B06
	s_mov_b64 exec, s[36:37]                                   // 00000001162C: BEFE0124
	s_branch label_4416                                        // 000000011630: BF820906

0000000000011634 <label_3B10>:
	ds_write_b64 v20, v[88:89]                                 // 000000011634: D89A0000 00005814
	ds_write_b64 v20, v[92:93] offset:4352                     // 00000001163C: D89A1100 00005C14
	ds_write_b64 v20, v[96:97] offset:8704                     // 000000011644: D89A2200 00006014
	ds_write_b64 v20, v[100:101] offset:13056                  // 00000001164C: D89A3300 00006414
	ds_write_b64 v20, v[104:105] offset:17408                  // 000000011654: D89A4400 00006814
	ds_write_b64 v20, v[108:109] offset:21760                  // 00000001165C: D89A5500 00006C14
	ds_write_b64 v20, v[112:113] offset:26112                  // 000000011664: D89A6600 00007014
	ds_write_b64 v20, v[116:117] offset:30464                  // 00000001166C: D89A7700 00007414
	ds_write_b64 v20, v[120:121] offset:34816                  // 000000011674: D89A8800 00007814
	ds_write_b64 v20, v[124:125] offset:2176                   // 00000001167C: D89A0880 00007C14
	ds_write_b64 v20, v[128:129] offset:6528                   // 000000011684: D89A1980 00008014
	ds_write_b64 v20, v[132:133] offset:10880                  // 00000001168C: D89A2A80 00008414
	ds_write_b64 v20, v[136:137] offset:15232                  // 000000011694: D89A3B80 00008814
	ds_write_b64 v20, v[140:141] offset:19584                  // 00000001169C: D89A4C80 00008C14
	ds_write_b64 v20, v[144:145] offset:23936                  // 0000000116A4: D89A5D80 00009014
	ds_write_b64 v20, v[148:149] offset:28288                  // 0000000116AC: D89A6E80 00009414
	ds_write_b64 v20, v[152:153] offset:32640                  // 0000000116B4: D89A7F80 00009814
	ds_write_b64 v20, v[156:157] offset:36992                  // 0000000116BC: D89A9080 00009C14
	v_lshrrev_b32_e32 v4, 5, v0                                // 0000000116C4: 20080085
	v_xor_b32_e32 v5, 1, v4                                    // 0000000116C8: 2A0A0881
	s_mul_i32 s60, s65, 2                                      // 0000000116CC: 923C8241
	s_cmp_eq_u32 s88, 0                                        // 0000000116D0: BF068058
	s_cselect_b32 s61, 1, 4                                    // 0000000116D4: 853D8481
	s_mul_i32 s60, s61, s60                                    // 0000000116D8: 923C3C3D
	v_readlane_b32 s82, v3, 0                                  // 0000000116DC: D2890052 00010103
	s_lshr_b32 s61, s82, 24                                    // 0000000116E4: 8F3D9852
	s_and_b32 s82, s82, 0xffffff                               // 0000000116E8: 8652FF52 00FFFFFF
	s_mul_i32 s82, s82, s71                                    // 0000000116F0: 92524752
	s_mul_i32 s61, s60, s61                                    // 0000000116F4: 923D3D3C
	s_add_u32 s82, s82, s61                                    // 0000000116F8: 80523D52
	v_mul_lo_u32 v6, v5, s82                                   // 0000000116FC: D2850006 0000A505
	v_readlane_b32 s82, v3, 1                                  // 000000011704: D2890052 00010303
	s_lshr_b32 s61, s82, 24                                    // 00000001170C: 8F3D9852
	s_and_b32 s82, s82, 0xffffff                               // 000000011710: 8652FF52 00FFFFFF
	s_mul_i32 s82, s82, s71                                    // 000000011718: 92524752
	s_mul_i32 s61, s60, s61                                    // 00000001171C: 923D3D3C
	s_add_u32 s82, s82, s61                                    // 000000011720: 80523D52
	v_mul_lo_u32 v7, v4, s82                                   // 000000011724: D2850007 0000A504
	v_add_u32_e32 v66, v6, v7                                  // 00000001172C: 68840F06
	v_readlane_b32 s82, v3, 2                                  // 000000011730: D2890052 00010503
	s_lshr_b32 s61, s82, 24                                    // 000000011738: 8F3D9852
	s_and_b32 s82, s82, 0xffffff                               // 00000001173C: 8652FF52 00FFFFFF
	s_mul_i32 s82, s82, s71                                    // 000000011744: 92524752
	s_mul_i32 s61, s60, s61                                    // 000000011748: 923D3D3C
	s_add_u32 s82, s82, s61                                    // 00000001174C: 80523D52
	v_mul_lo_u32 v6, v5, s82                                   // 000000011750: D2850006 0000A505
	v_readlane_b32 s82, v3, 3                                  // 000000011758: D2890052 00010703
	s_lshr_b32 s61, s82, 24                                    // 000000011760: 8F3D9852
	s_and_b32 s82, s82, 0xffffff                               // 000000011764: 8652FF52 00FFFFFF
	s_mul_i32 s82, s82, s71                                    // 00000001176C: 92524752
	s_mul_i32 s61, s60, s61                                    // 000000011770: 923D3D3C
	s_add_u32 s82, s82, s61                                    // 000000011774: 80523D52
	v_mul_lo_u32 v7, v4, s82                                   // 000000011778: D2850007 0000A504
	v_add_u32_e32 v67, v6, v7                                  // 000000011780: 68860F06
	v_readlane_b32 s82, v3, 4                                  // 000000011784: D2890052 00010903
	s_lshr_b32 s61, s82, 24                                    // 00000001178C: 8F3D9852
	s_and_b32 s82, s82, 0xffffff                               // 000000011790: 8652FF52 00FFFFFF
	s_mul_i32 s82, s82, s71                                    // 000000011798: 92524752
	s_mul_i32 s61, s60, s61                                    // 00000001179C: 923D3D3C
	s_add_u32 s82, s82, s61                                    // 0000000117A0: 80523D52
	v_mul_lo_u32 v6, v5, s82                                   // 0000000117A4: D2850006 0000A505
	v_readlane_b32 s82, v3, 5                                  // 0000000117AC: D2890052 00010B03
	s_lshr_b32 s61, s82, 24                                    // 0000000117B4: 8F3D9852
	s_and_b32 s82, s82, 0xffffff                               // 0000000117B8: 8652FF52 00FFFFFF
	s_mul_i32 s82, s82, s71                                    // 0000000117C0: 92524752
	s_mul_i32 s61, s60, s61                                    // 0000000117C4: 923D3D3C
	s_add_u32 s82, s82, s61                                    // 0000000117C8: 80523D52
	v_mul_lo_u32 v7, v4, s82                                   // 0000000117CC: D2850007 0000A504
	v_add_u32_e32 v68, v6, v7                                  // 0000000117D4: 68880F06
	v_readlane_b32 s82, v3, 6                                  // 0000000117D8: D2890052 00010D03
	s_lshr_b32 s61, s82, 24                                    // 0000000117E0: 8F3D9852
	s_and_b32 s82, s82, 0xffffff                               // 0000000117E4: 8652FF52 00FFFFFF
	s_mul_i32 s82, s82, s71                                    // 0000000117EC: 92524752
	s_mul_i32 s61, s60, s61                                    // 0000000117F0: 923D3D3C
	s_add_u32 s82, s82, s61                                    // 0000000117F4: 80523D52
	v_mul_lo_u32 v6, v5, s82                                   // 0000000117F8: D2850006 0000A505
	v_readlane_b32 s82, v3, 7                                  // 000000011800: D2890052 00010F03
	s_lshr_b32 s61, s82, 24                                    // 000000011808: 8F3D9852
	s_and_b32 s82, s82, 0xffffff                               // 00000001180C: 8652FF52 00FFFFFF
	s_mul_i32 s82, s82, s71                                    // 000000011814: 92524752
	s_mul_i32 s61, s60, s61                                    // 000000011818: 923D3D3C
	s_add_u32 s82, s82, s61                                    // 00000001181C: 80523D52
	v_mul_lo_u32 v7, v4, s82                                   // 000000011820: D2850007 0000A504
	v_add_u32_e32 v69, v6, v7                                  // 000000011828: 688A0F06
	v_readlane_b32 s82, v3, 8                                  // 00000001182C: D2890052 00011103
	s_lshr_b32 s61, s82, 24                                    // 000000011834: 8F3D9852
	s_and_b32 s82, s82, 0xffffff                               // 000000011838: 8652FF52 00FFFFFF
	s_mul_i32 s82, s82, s71                                    // 000000011840: 92524752
	s_mul_i32 s61, s60, s61                                    // 000000011844: 923D3D3C
	s_add_u32 s82, s82, s61                                    // 000000011848: 80523D52
	v_mul_lo_u32 v6, v5, s82                                   // 00000001184C: D2850006 0000A505
	v_readlane_b32 s82, v3, 9                                  // 000000011854: D2890052 00011303
	s_lshr_b32 s61, s82, 24                                    // 00000001185C: 8F3D9852
	s_and_b32 s82, s82, 0xffffff                               // 000000011860: 8652FF52 00FFFFFF
	s_mul_i32 s82, s82, s71                                    // 000000011868: 92524752
	s_mul_i32 s61, s60, s61                                    // 00000001186C: 923D3D3C
	s_add_u32 s82, s82, s61                                    // 000000011870: 80523D52
	v_mul_lo_u32 v7, v4, s82                                   // 000000011874: D2850007 0000A504
	v_add_u32_e32 v70, v6, v7                                  // 00000001187C: 688C0F06
	v_readlane_b32 s82, v3, 10                                 // 000000011880: D2890052 00011503
	s_lshr_b32 s61, s82, 24                                    // 000000011888: 8F3D9852
	s_and_b32 s82, s82, 0xffffff                               // 00000001188C: 8652FF52 00FFFFFF
	s_mul_i32 s82, s82, s71                                    // 000000011894: 92524752
	s_mul_i32 s61, s60, s61                                    // 000000011898: 923D3D3C
	s_add_u32 s82, s82, s61                                    // 00000001189C: 80523D52
	v_mul_lo_u32 v6, v5, s82                                   // 0000000118A0: D2850006 0000A505
	v_readlane_b32 s82, v3, 11                                 // 0000000118A8: D2890052 00011703
	s_lshr_b32 s61, s82, 24                                    // 0000000118B0: 8F3D9852
	s_and_b32 s82, s82, 0xffffff                               // 0000000118B4: 8652FF52 00FFFFFF
	s_mul_i32 s82, s82, s71                                    // 0000000118BC: 92524752
	s_mul_i32 s61, s60, s61                                    // 0000000118C0: 923D3D3C
	s_add_u32 s82, s82, s61                                    // 0000000118C4: 80523D52
	v_mul_lo_u32 v7, v4, s82                                   // 0000000118C8: D2850007 0000A504
	v_add_u32_e32 v71, v6, v7                                  // 0000000118D0: 688E0F06
	v_readlane_b32 s82, v3, 12                                 // 0000000118D4: D2890052 00011903
	s_lshr_b32 s61, s82, 24                                    // 0000000118DC: 8F3D9852
	s_and_b32 s82, s82, 0xffffff                               // 0000000118E0: 8652FF52 00FFFFFF
	s_mul_i32 s82, s82, s71                                    // 0000000118E8: 92524752
	s_mul_i32 s61, s60, s61                                    // 0000000118EC: 923D3D3C
	s_add_u32 s82, s82, s61                                    // 0000000118F0: 80523D52
	v_mul_lo_u32 v6, v5, s82                                   // 0000000118F4: D2850006 0000A505
	v_readlane_b32 s82, v3, 13                                 // 0000000118FC: D2890052 00011B03
	s_lshr_b32 s61, s82, 24                                    // 000000011904: 8F3D9852
	s_and_b32 s82, s82, 0xffffff                               // 000000011908: 8652FF52 00FFFFFF
	s_mul_i32 s82, s82, s71                                    // 000000011910: 92524752
	s_mul_i32 s61, s60, s61                                    // 000000011914: 923D3D3C
	s_add_u32 s82, s82, s61                                    // 000000011918: 80523D52
	v_mul_lo_u32 v7, v4, s82                                   // 00000001191C: D2850007 0000A504
	v_add_u32_e32 v72, v6, v7                                  // 000000011924: 68900F06
	v_readlane_b32 s82, v3, 14                                 // 000000011928: D2890052 00011D03
	s_lshr_b32 s61, s82, 24                                    // 000000011930: 8F3D9852
	s_and_b32 s82, s82, 0xffffff                               // 000000011934: 8652FF52 00FFFFFF
	s_mul_i32 s82, s82, s71                                    // 00000001193C: 92524752
	s_mul_i32 s61, s60, s61                                    // 000000011940: 923D3D3C
	s_add_u32 s82, s82, s61                                    // 000000011944: 80523D52
	v_mul_lo_u32 v6, v5, s82                                   // 000000011948: D2850006 0000A505
	v_readlane_b32 s82, v3, 15                                 // 000000011950: D2890052 00011F03
	s_lshr_b32 s61, s82, 24                                    // 000000011958: 8F3D9852
	s_and_b32 s82, s82, 0xffffff                               // 00000001195C: 8652FF52 00FFFFFF
	s_mul_i32 s82, s82, s71                                    // 000000011964: 92524752
	s_mul_i32 s61, s60, s61                                    // 000000011968: 923D3D3C
	s_add_u32 s82, s82, s61                                    // 00000001196C: 80523D52
	v_mul_lo_u32 v7, v4, s82                                   // 000000011970: D2850007 0000A504
	v_add_u32_e32 v73, v6, v7                                  // 000000011978: 68920F06
	v_readlane_b32 s82, v3, 16                                 // 00000001197C: D2890052 00012103
	s_lshr_b32 s61, s82, 24                                    // 000000011984: 8F3D9852
	s_and_b32 s82, s82, 0xffffff                               // 000000011988: 8652FF52 00FFFFFF
	s_mul_i32 s82, s82, s71                                    // 000000011990: 92524752
	s_mul_i32 s61, s60, s61                                    // 000000011994: 923D3D3C
	s_add_u32 s82, s82, s61                                    // 000000011998: 80523D52
	v_mul_lo_u32 v6, v5, s82                                   // 00000001199C: D2850006 0000A505
	v_readlane_b32 s82, v3, 17                                 // 0000000119A4: D2890052 00012303
	s_lshr_b32 s61, s82, 24                                    // 0000000119AC: 8F3D9852
	s_and_b32 s82, s82, 0xffffff                               // 0000000119B0: 8652FF52 00FFFFFF
	s_mul_i32 s82, s82, s71                                    // 0000000119B8: 92524752
	s_mul_i32 s61, s60, s61                                    // 0000000119BC: 923D3D3C
	s_add_u32 s82, s82, s61                                    // 0000000119C0: 80523D52
	v_mul_lo_u32 v7, v4, s82                                   // 0000000119C4: D2850007 0000A504
	v_add_u32_e32 v74, v6, v7                                  // 0000000119CC: 68940F06
	v_readlane_b32 s82, v3, 18                                 // 0000000119D0: D2890052 00012503
	s_lshr_b32 s61, s82, 24                                    // 0000000119D8: 8F3D9852
	s_and_b32 s82, s82, 0xffffff                               // 0000000119DC: 8652FF52 00FFFFFF
	s_mul_i32 s82, s82, s71                                    // 0000000119E4: 92524752
	s_mul_i32 s61, s60, s61                                    // 0000000119E8: 923D3D3C
	s_add_u32 s82, s82, s61                                    // 0000000119EC: 80523D52
	v_mul_lo_u32 v6, v5, s82                                   // 0000000119F0: D2850006 0000A505
	v_readlane_b32 s82, v3, 19                                 // 0000000119F8: D2890052 00012703
	s_lshr_b32 s61, s82, 24                                    // 000000011A00: 8F3D9852
	s_and_b32 s82, s82, 0xffffff                               // 000000011A04: 8652FF52 00FFFFFF
	s_mul_i32 s82, s82, s71                                    // 000000011A0C: 92524752
	s_mul_i32 s61, s60, s61                                    // 000000011A10: 923D3D3C
	s_add_u32 s82, s82, s61                                    // 000000011A14: 80523D52
	v_mul_lo_u32 v7, v4, s82                                   // 000000011A18: D2850007 0000A504
	v_add_u32_e32 v75, v6, v7                                  // 000000011A20: 68960F06
	v_readlane_b32 s82, v3, 20                                 // 000000011A24: D2890052 00012903
	s_lshr_b32 s61, s82, 24                                    // 000000011A2C: 8F3D9852
	s_and_b32 s82, s82, 0xffffff                               // 000000011A30: 8652FF52 00FFFFFF
	s_mul_i32 s82, s82, s71                                    // 000000011A38: 92524752
	s_mul_i32 s61, s60, s61                                    // 000000011A3C: 923D3D3C
	s_add_u32 s82, s82, s61                                    // 000000011A40: 80523D52
	v_mul_lo_u32 v6, v5, s82                                   // 000000011A44: D2850006 0000A505
	v_readlane_b32 s82, v3, 21                                 // 000000011A4C: D2890052 00012B03
	s_lshr_b32 s61, s82, 24                                    // 000000011A54: 8F3D9852
	s_and_b32 s82, s82, 0xffffff                               // 000000011A58: 8652FF52 00FFFFFF
	s_mul_i32 s82, s82, s71                                    // 000000011A60: 92524752
	s_mul_i32 s61, s60, s61                                    // 000000011A64: 923D3D3C
	s_add_u32 s82, s82, s61                                    // 000000011A68: 80523D52
	v_mul_lo_u32 v7, v4, s82                                   // 000000011A6C: D2850007 0000A504
	v_add_u32_e32 v76, v6, v7                                  // 000000011A74: 68980F06
	v_readlane_b32 s82, v3, 22                                 // 000000011A78: D2890052 00012D03
	s_lshr_b32 s61, s82, 24                                    // 000000011A80: 8F3D9852
	s_and_b32 s82, s82, 0xffffff                               // 000000011A84: 8652FF52 00FFFFFF
	s_mul_i32 s82, s82, s71                                    // 000000011A8C: 92524752
	s_mul_i32 s61, s60, s61                                    // 000000011A90: 923D3D3C
	s_add_u32 s82, s82, s61                                    // 000000011A94: 80523D52
	v_mul_lo_u32 v6, v5, s82                                   // 000000011A98: D2850006 0000A505
	v_readlane_b32 s82, v3, 23                                 // 000000011AA0: D2890052 00012F03
	s_lshr_b32 s61, s82, 24                                    // 000000011AA8: 8F3D9852
	s_and_b32 s82, s82, 0xffffff                               // 000000011AAC: 8652FF52 00FFFFFF
	s_mul_i32 s82, s82, s71                                    // 000000011AB4: 92524752
	s_mul_i32 s61, s60, s61                                    // 000000011AB8: 923D3D3C
	s_add_u32 s82, s82, s61                                    // 000000011ABC: 80523D52
	v_mul_lo_u32 v7, v4, s82                                   // 000000011AC0: D2850007 0000A504
	v_add_u32_e32 v77, v6, v7                                  // 000000011AC8: 689A0F06
	v_readlane_b32 s82, v3, 24                                 // 000000011ACC: D2890052 00013103
	s_lshr_b32 s61, s82, 24                                    // 000000011AD4: 8F3D9852
	s_and_b32 s82, s82, 0xffffff                               // 000000011AD8: 8652FF52 00FFFFFF
	s_mul_i32 s82, s82, s71                                    // 000000011AE0: 92524752
	s_mul_i32 s61, s60, s61                                    // 000000011AE4: 923D3D3C
	s_add_u32 s82, s82, s61                                    // 000000011AE8: 80523D52
	v_mul_lo_u32 v6, v5, s82                                   // 000000011AEC: D2850006 0000A505
	v_readlane_b32 s82, v3, 25                                 // 000000011AF4: D2890052 00013303
	s_lshr_b32 s61, s82, 24                                    // 000000011AFC: 8F3D9852
	s_and_b32 s82, s82, 0xffffff                               // 000000011B00: 8652FF52 00FFFFFF
	s_mul_i32 s82, s82, s71                                    // 000000011B08: 92524752
	s_mul_i32 s61, s60, s61                                    // 000000011B0C: 923D3D3C
	s_add_u32 s82, s82, s61                                    // 000000011B10: 80523D52
	v_mul_lo_u32 v7, v4, s82                                   // 000000011B14: D2850007 0000A504
	v_add_u32_e32 v78, v6, v7                                  // 000000011B1C: 689C0F06
	v_readlane_b32 s82, v3, 26                                 // 000000011B20: D2890052 00013503
	s_lshr_b32 s61, s82, 24                                    // 000000011B28: 8F3D9852
	s_and_b32 s82, s82, 0xffffff                               // 000000011B2C: 8652FF52 00FFFFFF
	s_mul_i32 s82, s82, s71                                    // 000000011B34: 92524752
	s_mul_i32 s61, s60, s61                                    // 000000011B38: 923D3D3C
	s_add_u32 s82, s82, s61                                    // 000000011B3C: 80523D52
	v_mul_lo_u32 v6, v5, s82                                   // 000000011B40: D2850006 0000A505
	v_readlane_b32 s82, v3, 27                                 // 000000011B48: D2890052 00013703
	s_lshr_b32 s61, s82, 24                                    // 000000011B50: 8F3D9852
	s_and_b32 s82, s82, 0xffffff                               // 000000011B54: 8652FF52 00FFFFFF
	s_mul_i32 s82, s82, s71                                    // 000000011B5C: 92524752
	s_mul_i32 s61, s60, s61                                    // 000000011B60: 923D3D3C
	s_add_u32 s82, s82, s61                                    // 000000011B64: 80523D52
	v_mul_lo_u32 v7, v4, s82                                   // 000000011B68: D2850007 0000A504
	v_add_u32_e32 v79, v6, v7                                  // 000000011B70: 689E0F06
	v_readlane_b32 s82, v3, 28                                 // 000000011B74: D2890052 00013903
	s_lshr_b32 s61, s82, 24                                    // 000000011B7C: 8F3D9852
	s_and_b32 s82, s82, 0xffffff                               // 000000011B80: 8652FF52 00FFFFFF
	s_mul_i32 s82, s82, s71                                    // 000000011B88: 92524752
	s_mul_i32 s61, s60, s61                                    // 000000011B8C: 923D3D3C
	s_add_u32 s82, s82, s61                                    // 000000011B90: 80523D52
	v_mul_lo_u32 v6, v5, s82                                   // 000000011B94: D2850006 0000A505
	v_readlane_b32 s82, v3, 29                                 // 000000011B9C: D2890052 00013B03
	s_lshr_b32 s61, s82, 24                                    // 000000011BA4: 8F3D9852
	s_and_b32 s82, s82, 0xffffff                               // 000000011BA8: 8652FF52 00FFFFFF
	s_mul_i32 s82, s82, s71                                    // 000000011BB0: 92524752
	s_mul_i32 s61, s60, s61                                    // 000000011BB4: 923D3D3C
	s_add_u32 s82, s82, s61                                    // 000000011BB8: 80523D52
	v_mul_lo_u32 v7, v4, s82                                   // 000000011BBC: D2850007 0000A504
	v_add_u32_e32 v80, v6, v7                                  // 000000011BC4: 68A00F06
	v_readlane_b32 s82, v3, 30                                 // 000000011BC8: D2890052 00013D03
	s_lshr_b32 s61, s82, 24                                    // 000000011BD0: 8F3D9852
	s_and_b32 s82, s82, 0xffffff                               // 000000011BD4: 8652FF52 00FFFFFF
	s_mul_i32 s82, s82, s71                                    // 000000011BDC: 92524752
	s_mul_i32 s61, s60, s61                                    // 000000011BE0: 923D3D3C
	s_add_u32 s82, s82, s61                                    // 000000011BE4: 80523D52
	v_mul_lo_u32 v6, v5, s82                                   // 000000011BE8: D2850006 0000A505
	v_readlane_b32 s82, v3, 31                                 // 000000011BF0: D2890052 00013F03
	s_lshr_b32 s61, s82, 24                                    // 000000011BF8: 8F3D9852
	s_and_b32 s82, s82, 0xffffff                               // 000000011BFC: 8652FF52 00FFFFFF
	s_mul_i32 s82, s82, s71                                    // 000000011C04: 92524752
	s_mul_i32 s61, s60, s61                                    // 000000011C08: 923D3D3C
	s_add_u32 s82, s82, s61                                    // 000000011C0C: 80523D52
	v_mul_lo_u32 v7, v4, s82                                   // 000000011C10: D2850007 0000A504
	v_add_u32_e32 v81, v6, v7                                  // 000000011C18: 68A20F06
	v_readlane_b32 s82, v3, 32                                 // 000000011C1C: D2890052 00014103
	s_lshr_b32 s61, s82, 24                                    // 000000011C24: 8F3D9852
	s_and_b32 s82, s82, 0xffffff                               // 000000011C28: 8652FF52 00FFFFFF
	s_mul_i32 s82, s82, s71                                    // 000000011C30: 92524752
	s_mul_i32 s61, s60, s61                                    // 000000011C34: 923D3D3C
	s_add_u32 s82, s82, s61                                    // 000000011C38: 80523D52
	v_mul_lo_u32 v6, v5, s82                                   // 000000011C3C: D2850006 0000A505
	v_readlane_b32 s82, v3, 33                                 // 000000011C44: D2890052 00014303
	s_lshr_b32 s61, s82, 24                                    // 000000011C4C: 8F3D9852
	s_and_b32 s82, s82, 0xffffff                               // 000000011C50: 8652FF52 00FFFFFF
	s_mul_i32 s82, s82, s71                                    // 000000011C58: 92524752
	s_mul_i32 s61, s60, s61                                    // 000000011C5C: 923D3D3C
	s_add_u32 s82, s82, s61                                    // 000000011C60: 80523D52
	v_mul_lo_u32 v7, v4, s82                                   // 000000011C64: D2850007 0000A504
	v_add_u32_e32 v82, v6, v7                                  // 000000011C6C: 68A40F06
	v_readlane_b32 s82, v3, 34                                 // 000000011C70: D2890052 00014503
	s_lshr_b32 s61, s82, 24                                    // 000000011C78: 8F3D9852
	s_and_b32 s82, s82, 0xffffff                               // 000000011C7C: 8652FF52 00FFFFFF
	s_mul_i32 s82, s82, s71                                    // 000000011C84: 92524752
	s_mul_i32 s61, s60, s61                                    // 000000011C88: 923D3D3C
	s_add_u32 s82, s82, s61                                    // 000000011C8C: 80523D52
	v_mul_lo_u32 v6, v5, s82                                   // 000000011C90: D2850006 0000A505
	v_readlane_b32 s82, v3, 35                                 // 000000011C98: D2890052 00014703
	s_lshr_b32 s61, s82, 24                                    // 000000011CA0: 8F3D9852
	s_and_b32 s82, s82, 0xffffff                               // 000000011CA4: 8652FF52 00FFFFFF
	s_mul_i32 s82, s82, s71                                    // 000000011CAC: 92524752
	s_mul_i32 s61, s60, s61                                    // 000000011CB0: 923D3D3C
	s_add_u32 s82, s82, s61                                    // 000000011CB4: 80523D52
	v_mul_lo_u32 v7, v4, s82                                   // 000000011CB8: D2850007 0000A504
	v_add_u32_e32 v83, v6, v7                                  // 000000011CC0: 68A60F06
	v_and_b32_e32 v4, 31, v0                                   // 000000011CC4: 2608009F
	v_lshrrev_b32_e32 v4, 1, v4                                // 000000011CC8: 20080881
	s_cmp_eq_u32 s88, 0                                        // 000000011CCC: BF068058
	s_cselect_b32 s61, 2, 4                                    // 000000011CD0: 853D8482
	v_mul_lo_u32 v4, v4, s61                                   // 000000011CD4: D2850004 00007B04
	v_and_b32_e64 v5, v0, 1                                    // 000000011CDC: D1130005 00010300
	v_add_u32_e32 v4, v4, v5                                   // 000000011CE4: 68080B04
	v_lshlrev_b32_e32 v4, 2, v4                                // 000000011CE8: 24080882
	v_add_u32_e32 v66, v66, v4                                 // 000000011CEC: 68840942
	v_add_u32_e32 v67, v67, v4                                 // 000000011CF0: 68860943
	v_add_u32_e32 v68, v68, v4                                 // 000000011CF4: 68880944
	v_add_u32_e32 v69, v69, v4                                 // 000000011CF8: 688A0945
	v_add_u32_e32 v70, v70, v4                                 // 000000011CFC: 688C0946
	v_add_u32_e32 v71, v71, v4                                 // 000000011D00: 688E0947
	v_add_u32_e32 v72, v72, v4                                 // 000000011D04: 68900948
	v_add_u32_e32 v73, v73, v4                                 // 000000011D08: 68920949
	v_add_u32_e32 v74, v74, v4                                 // 000000011D0C: 6894094A
	v_add_u32_e32 v75, v75, v4                                 // 000000011D10: 6896094B
	v_add_u32_e32 v76, v76, v4                                 // 000000011D14: 6898094C
	v_add_u32_e32 v77, v77, v4                                 // 000000011D18: 689A094D
	v_add_u32_e32 v78, v78, v4                                 // 000000011D1C: 689C094E
	v_add_u32_e32 v79, v79, v4                                 // 000000011D20: 689E094F
	v_add_u32_e32 v80, v80, v4                                 // 000000011D24: 68A00950
	v_add_u32_e32 v81, v81, v4                                 // 000000011D28: 68A20951
	v_add_u32_e32 v82, v82, v4                                 // 000000011D2C: 68A40952
	v_add_u32_e32 v83, v83, v4                                 // 000000011D30: 68A60953
	s_waitcnt lgkmcnt(0)                                       // 000000011D34: BF8CC07F
	s_barrier                                                  // 000000011D38: BF8A0000
	ds_read_b32 v88, v21                                       // 000000011D3C: D86C0000 58000015
	ds_read_b32 v89, v21 offset:64                             // 000000011D44: D86C0040 59000015
	ds_read_b32 v92, v21 offset:2176                           // 000000011D4C: D86C0880 5C000015
	ds_read_b32 v93, v21 offset:2240                           // 000000011D54: D86C08C0 5D000015
	ds_read_b32 v96, v21 offset:4352                           // 000000011D5C: D86C1100 60000015
	ds_read_b32 v97, v21 offset:4416                           // 000000011D64: D86C1140 61000015
	ds_read_b32 v100, v21 offset:6528                          // 000000011D6C: D86C1980 64000015
	ds_read_b32 v101, v21 offset:6592                          // 000000011D74: D86C19C0 65000015
	ds_read_b32 v104, v21 offset:8704                          // 000000011D7C: D86C2200 68000015
	ds_read_b32 v105, v21 offset:8768                          // 000000011D84: D86C2240 69000015
	ds_read_b32 v108, v21 offset:10880                         // 000000011D8C: D86C2A80 6C000015
	ds_read_b32 v109, v21 offset:10944                         // 000000011D94: D86C2AC0 6D000015
	ds_read_b32 v112, v21 offset:13056                         // 000000011D9C: D86C3300 70000015
	ds_read_b32 v113, v21 offset:13120                         // 000000011DA4: D86C3340 71000015
	ds_read_b32 v116, v21 offset:15232                         // 000000011DAC: D86C3B80 74000015
	ds_read_b32 v117, v21 offset:15296                         // 000000011DB4: D86C3BC0 75000015
	ds_read_b32 v120, v21 offset:17408                         // 000000011DBC: D86C4400 78000015
	ds_read_b32 v121, v21 offset:17472                         // 000000011DC4: D86C4440 79000015
	ds_read_b32 v124, v21 offset:19584                         // 000000011DCC: D86C4C80 7C000015
	ds_read_b32 v125, v21 offset:19648                         // 000000011DD4: D86C4CC0 7D000015
	ds_read_b32 v128, v21 offset:21760                         // 000000011DDC: D86C5500 80000015
	ds_read_b32 v129, v21 offset:21824                         // 000000011DE4: D86C5540 81000015
	ds_read_b32 v132, v21 offset:23936                         // 000000011DEC: D86C5D80 84000015
	ds_read_b32 v133, v21 offset:24000                         // 000000011DF4: D86C5DC0 85000015
	ds_read_b32 v136, v21 offset:26112                         // 000000011DFC: D86C6600 88000015
	ds_read_b32 v137, v21 offset:26176                         // 000000011E04: D86C6640 89000015
	ds_read_b32 v140, v21 offset:28288                         // 000000011E0C: D86C6E80 8C000015
	ds_read_b32 v141, v21 offset:28352                         // 000000011E14: D86C6EC0 8D000015
	ds_read_b32 v144, v21 offset:30464                         // 000000011E1C: D86C7700 90000015
	ds_read_b32 v145, v21 offset:30528                         // 000000011E24: D86C7740 91000015
	ds_read_b32 v148, v21 offset:32640                         // 000000011E2C: D86C7F80 94000015
	ds_read_b32 v149, v21 offset:32704                         // 000000011E34: D86C7FC0 95000015
	ds_read_b32 v152, v21 offset:34816                         // 000000011E3C: D86C8800 98000015
	ds_read_b32 v153, v21 offset:34880                         // 000000011E44: D86C8840 99000015
	ds_read_b32 v156, v21 offset:36992                         // 000000011E4C: D86C9080 9C000015
	ds_read_b32 v157, v21 offset:37056                         // 000000011E54: D86C90C0 9D000015
	s_waitcnt lgkmcnt(0)                                       // 000000011E5C: BF8CC07F
	s_mov_b32 s36, -1                                          // 000000011E60: BEA400C1
	s_mov_b32 s37, -1                                          // 000000011E64: BEA500C1
	v_mov_b32_e32 v7, 0                                        // 000000011E68: 7E0E0280
	s_mov_b64 exec, s[36:37]                                   // 000000011E6C: BEFE0124
	v_mov_b32_e32 v6, v66                                      // 000000011E70: 7E0C0342
	s_mov_b64 s[60:61], 0                                      // 000000011E74: BEBC0180
	v_readlane_b32 s82, v3, 0                                  // 000000011E78: D2890052 00010103
	s_and_b32 s82, s82, 0xffffff                               // 000000011E80: 8652FF52 00FFFFFF
	s_cmp_lt_u32 s82, s66                                      // 000000011E88: BF0A4252
	s_cselect_b32 s20, s36, s60                                // 000000011E8C: 85143C24
	v_readlane_b32 s82, v3, 1                                  // 000000011E90: D2890052 00010303
	s_and_b32 s82, s82, 0xffffff                               // 000000011E98: 8652FF52 00FFFFFF
	s_cmp_lt_u32 s82, s66                                      // 000000011EA0: BF0A4252
	s_cselect_b32 s21, s36, s60                                // 000000011EA4: 85153C24
	s_mov_b64 exec, s[20:21]                                   // 000000011EA8: BEFE0114
	global_atomic_add_f32 v6, v88, s[8:9]                      // 000000011EAC: DD348000 00085806
	global_atomic_add_f32 v6, v92, s[8:9] offset:256           // 000000011EB4: DD348100 00085C06
	s_mov_b64 exec, s[36:37]                                   // 000000011EBC: BEFE0124
	v_mov_b32_e32 v6, v67                                      // 000000011EC0: 7E0C0343
	s_mov_b64 s[60:61], 0                                      // 000000011EC4: BEBC0180
	v_readlane_b32 s82, v3, 2                                  // 000000011EC8: D2890052 00010503
	s_and_b32 s82, s82, 0xffffff                               // 000000011ED0: 8652FF52 00FFFFFF
	s_cmp_lt_u32 s82, s66                                      // 000000011ED8: BF0A4252
	s_cselect_b32 s20, s36, s60                                // 000000011EDC: 85143C24
	v_readlane_b32 s82, v3, 3                                  // 000000011EE0: D2890052 00010703
	s_and_b32 s82, s82, 0xffffff                               // 000000011EE8: 8652FF52 00FFFFFF
	s_cmp_lt_u32 s82, s66                                      // 000000011EF0: BF0A4252
	s_cselect_b32 s21, s36, s60                                // 000000011EF4: 85153C24
	s_mov_b64 exec, s[20:21]                                   // 000000011EF8: BEFE0114
	global_atomic_add_f32 v6, v89, s[8:9]                      // 000000011EFC: DD348000 00085906
	global_atomic_add_f32 v6, v93, s[8:9] offset:256           // 000000011F04: DD348100 00085D06
	s_mov_b64 exec, s[36:37]                                   // 000000011F0C: BEFE0124
	v_mov_b32_e32 v6, v68                                      // 000000011F10: 7E0C0344
	s_mov_b64 s[60:61], 0                                      // 000000011F14: BEBC0180
	v_readlane_b32 s82, v3, 4                                  // 000000011F18: D2890052 00010903
	s_and_b32 s82, s82, 0xffffff                               // 000000011F20: 8652FF52 00FFFFFF
	s_cmp_lt_u32 s82, s66                                      // 000000011F28: BF0A4252
	s_cselect_b32 s20, s36, s60                                // 000000011F2C: 85143C24
	v_readlane_b32 s82, v3, 5                                  // 000000011F30: D2890052 00010B03
	s_and_b32 s82, s82, 0xffffff                               // 000000011F38: 8652FF52 00FFFFFF
	s_cmp_lt_u32 s82, s66                                      // 000000011F40: BF0A4252
	s_cselect_b32 s21, s36, s60                                // 000000011F44: 85153C24
	s_mov_b64 exec, s[20:21]                                   // 000000011F48: BEFE0114
	global_atomic_add_f32 v6, v96, s[8:9]                      // 000000011F4C: DD348000 00086006
	global_atomic_add_f32 v6, v100, s[8:9] offset:256          // 000000011F54: DD348100 00086406
	s_mov_b64 exec, s[36:37]                                   // 000000011F5C: BEFE0124
	v_mov_b32_e32 v6, v69                                      // 000000011F60: 7E0C0345
	s_mov_b64 s[60:61], 0                                      // 000000011F64: BEBC0180
	v_readlane_b32 s82, v3, 6                                  // 000000011F68: D2890052 00010D03
	s_and_b32 s82, s82, 0xffffff                               // 000000011F70: 8652FF52 00FFFFFF
	s_cmp_lt_u32 s82, s66                                      // 000000011F78: BF0A4252
	s_cselect_b32 s20, s36, s60                                // 000000011F7C: 85143C24
	v_readlane_b32 s82, v3, 7                                  // 000000011F80: D2890052 00010F03
	s_and_b32 s82, s82, 0xffffff                               // 000000011F88: 8652FF52 00FFFFFF
	s_cmp_lt_u32 s82, s66                                      // 000000011F90: BF0A4252
	s_cselect_b32 s21, s36, s60                                // 000000011F94: 85153C24
	s_mov_b64 exec, s[20:21]                                   // 000000011F98: BEFE0114
	global_atomic_add_f32 v6, v97, s[8:9]                      // 000000011F9C: DD348000 00086106
	global_atomic_add_f32 v6, v101, s[8:9] offset:256          // 000000011FA4: DD348100 00086506
	s_mov_b64 exec, s[36:37]                                   // 000000011FAC: BEFE0124
	v_mov_b32_e32 v6, v70                                      // 000000011FB0: 7E0C0346
	s_mov_b64 s[60:61], 0                                      // 000000011FB4: BEBC0180
	v_readlane_b32 s82, v3, 8                                  // 000000011FB8: D2890052 00011103
	s_and_b32 s82, s82, 0xffffff                               // 000000011FC0: 8652FF52 00FFFFFF
	s_cmp_lt_u32 s82, s66                                      // 000000011FC8: BF0A4252
	s_cselect_b32 s20, s36, s60                                // 000000011FCC: 85143C24
	v_readlane_b32 s82, v3, 9                                  // 000000011FD0: D2890052 00011303
	s_and_b32 s82, s82, 0xffffff                               // 000000011FD8: 8652FF52 00FFFFFF
	s_cmp_lt_u32 s82, s66                                      // 000000011FE0: BF0A4252
	s_cselect_b32 s21, s36, s60                                // 000000011FE4: 85153C24
	s_mov_b64 exec, s[20:21]                                   // 000000011FE8: BEFE0114
	global_atomic_add_f32 v6, v104, s[8:9]                     // 000000011FEC: DD348000 00086806
	global_atomic_add_f32 v6, v108, s[8:9] offset:256          // 000000011FF4: DD348100 00086C06
	s_mov_b64 exec, s[36:37]                                   // 000000011FFC: BEFE0124
	v_mov_b32_e32 v6, v71                                      // 000000012000: 7E0C0347
	s_mov_b64 s[60:61], 0                                      // 000000012004: BEBC0180
	v_readlane_b32 s82, v3, 10                                 // 000000012008: D2890052 00011503
	s_and_b32 s82, s82, 0xffffff                               // 000000012010: 8652FF52 00FFFFFF
	s_cmp_lt_u32 s82, s66                                      // 000000012018: BF0A4252
	s_cselect_b32 s20, s36, s60                                // 00000001201C: 85143C24
	v_readlane_b32 s82, v3, 11                                 // 000000012020: D2890052 00011703
	s_and_b32 s82, s82, 0xffffff                               // 000000012028: 8652FF52 00FFFFFF
	s_cmp_lt_u32 s82, s66                                      // 000000012030: BF0A4252
	s_cselect_b32 s21, s36, s60                                // 000000012034: 85153C24
	s_mov_b64 exec, s[20:21]                                   // 000000012038: BEFE0114
	global_atomic_add_f32 v6, v105, s[8:9]                     // 00000001203C: DD348000 00086906
	global_atomic_add_f32 v6, v109, s[8:9] offset:256          // 000000012044: DD348100 00086D06
	s_mov_b64 exec, s[36:37]                                   // 00000001204C: BEFE0124
	v_mov_b32_e32 v6, v72                                      // 000000012050: 7E0C0348
	s_mov_b64 s[60:61], 0                                      // 000000012054: BEBC0180
	v_readlane_b32 s82, v3, 12                                 // 000000012058: D2890052 00011903
	s_and_b32 s82, s82, 0xffffff                               // 000000012060: 8652FF52 00FFFFFF
	s_cmp_lt_u32 s82, s66                                      // 000000012068: BF0A4252
	s_cselect_b32 s20, s36, s60                                // 00000001206C: 85143C24
	v_readlane_b32 s82, v3, 13                                 // 000000012070: D2890052 00011B03
	s_and_b32 s82, s82, 0xffffff                               // 000000012078: 8652FF52 00FFFFFF
	s_cmp_lt_u32 s82, s66                                      // 000000012080: BF0A4252
	s_cselect_b32 s21, s36, s60                                // 000000012084: 85153C24
	s_mov_b64 exec, s[20:21]                                   // 000000012088: BEFE0114
	global_atomic_add_f32 v6, v112, s[8:9]                     // 00000001208C: DD348000 00087006
	global_atomic_add_f32 v6, v116, s[8:9] offset:256          // 000000012094: DD348100 00087406
	s_mov_b64 exec, s[36:37]                                   // 00000001209C: BEFE0124
	v_mov_b32_e32 v6, v73                                      // 0000000120A0: 7E0C0349
	s_mov_b64 s[60:61], 0                                      // 0000000120A4: BEBC0180
	v_readlane_b32 s82, v3, 14                                 // 0000000120A8: D2890052 00011D03
	s_and_b32 s82, s82, 0xffffff                               // 0000000120B0: 8652FF52 00FFFFFF
	s_cmp_lt_u32 s82, s66                                      // 0000000120B8: BF0A4252
	s_cselect_b32 s20, s36, s60                                // 0000000120BC: 85143C24
	v_readlane_b32 s82, v3, 15                                 // 0000000120C0: D2890052 00011F03
	s_and_b32 s82, s82, 0xffffff                               // 0000000120C8: 8652FF52 00FFFFFF
	s_cmp_lt_u32 s82, s66                                      // 0000000120D0: BF0A4252
	s_cselect_b32 s21, s36, s60                                // 0000000120D4: 85153C24
	s_mov_b64 exec, s[20:21]                                   // 0000000120D8: BEFE0114
	global_atomic_add_f32 v6, v113, s[8:9]                     // 0000000120DC: DD348000 00087106
	global_atomic_add_f32 v6, v117, s[8:9] offset:256          // 0000000120E4: DD348100 00087506
	s_mov_b64 exec, s[36:37]                                   // 0000000120EC: BEFE0124
	v_mov_b32_e32 v6, v74                                      // 0000000120F0: 7E0C034A
	s_mov_b64 s[60:61], 0                                      // 0000000120F4: BEBC0180
	v_readlane_b32 s82, v3, 16                                 // 0000000120F8: D2890052 00012103
	s_and_b32 s82, s82, 0xffffff                               // 000000012100: 8652FF52 00FFFFFF
	s_cmp_lt_u32 s82, s66                                      // 000000012108: BF0A4252
	s_cselect_b32 s20, s36, s60                                // 00000001210C: 85143C24
	v_readlane_b32 s82, v3, 17                                 // 000000012110: D2890052 00012303
	s_and_b32 s82, s82, 0xffffff                               // 000000012118: 8652FF52 00FFFFFF
	s_cmp_lt_u32 s82, s66                                      // 000000012120: BF0A4252
	s_cselect_b32 s21, s36, s60                                // 000000012124: 85153C24
	s_mov_b64 exec, s[20:21]                                   // 000000012128: BEFE0114
	global_atomic_add_f32 v6, v120, s[8:9]                     // 00000001212C: DD348000 00087806
	global_atomic_add_f32 v6, v124, s[8:9] offset:256          // 000000012134: DD348100 00087C06
	s_mov_b64 exec, s[36:37]                                   // 00000001213C: BEFE0124
	v_mov_b32_e32 v6, v75                                      // 000000012140: 7E0C034B
	s_mov_b64 s[60:61], 0                                      // 000000012144: BEBC0180
	v_readlane_b32 s82, v3, 18                                 // 000000012148: D2890052 00012503
	s_and_b32 s82, s82, 0xffffff                               // 000000012150: 8652FF52 00FFFFFF
	s_cmp_lt_u32 s82, s66                                      // 000000012158: BF0A4252
	s_cselect_b32 s20, s36, s60                                // 00000001215C: 85143C24
	v_readlane_b32 s82, v3, 19                                 // 000000012160: D2890052 00012703
	s_and_b32 s82, s82, 0xffffff                               // 000000012168: 8652FF52 00FFFFFF
	s_cmp_lt_u32 s82, s66                                      // 000000012170: BF0A4252
	s_cselect_b32 s21, s36, s60                                // 000000012174: 85153C24
	s_mov_b64 exec, s[20:21]                                   // 000000012178: BEFE0114
	global_atomic_add_f32 v6, v121, s[8:9]                     // 00000001217C: DD348000 00087906
	global_atomic_add_f32 v6, v125, s[8:9] offset:256          // 000000012184: DD348100 00087D06
	s_mov_b64 exec, s[36:37]                                   // 00000001218C: BEFE0124
	v_mov_b32_e32 v6, v76                                      // 000000012190: 7E0C034C
	s_mov_b64 s[60:61], 0                                      // 000000012194: BEBC0180
	v_readlane_b32 s82, v3, 20                                 // 000000012198: D2890052 00012903
	s_and_b32 s82, s82, 0xffffff                               // 0000000121A0: 8652FF52 00FFFFFF
	s_cmp_lt_u32 s82, s66                                      // 0000000121A8: BF0A4252
	s_cselect_b32 s20, s36, s60                                // 0000000121AC: 85143C24
	v_readlane_b32 s82, v3, 21                                 // 0000000121B0: D2890052 00012B03
	s_and_b32 s82, s82, 0xffffff                               // 0000000121B8: 8652FF52 00FFFFFF
	s_cmp_lt_u32 s82, s66                                      // 0000000121C0: BF0A4252
	s_cselect_b32 s21, s36, s60                                // 0000000121C4: 85153C24
	s_mov_b64 exec, s[20:21]                                   // 0000000121C8: BEFE0114
	global_atomic_add_f32 v6, v128, s[8:9]                     // 0000000121CC: DD348000 00088006
	global_atomic_add_f32 v6, v132, s[8:9] offset:256          // 0000000121D4: DD348100 00088406
	s_mov_b64 exec, s[36:37]                                   // 0000000121DC: BEFE0124
	v_mov_b32_e32 v6, v77                                      // 0000000121E0: 7E0C034D
	s_mov_b64 s[60:61], 0                                      // 0000000121E4: BEBC0180
	v_readlane_b32 s82, v3, 22                                 // 0000000121E8: D2890052 00012D03
	s_and_b32 s82, s82, 0xffffff                               // 0000000121F0: 8652FF52 00FFFFFF
	s_cmp_lt_u32 s82, s66                                      // 0000000121F8: BF0A4252
	s_cselect_b32 s20, s36, s60                                // 0000000121FC: 85143C24
	v_readlane_b32 s82, v3, 23                                 // 000000012200: D2890052 00012F03
	s_and_b32 s82, s82, 0xffffff                               // 000000012208: 8652FF52 00FFFFFF
	s_cmp_lt_u32 s82, s66                                      // 000000012210: BF0A4252
	s_cselect_b32 s21, s36, s60                                // 000000012214: 85153C24
	s_mov_b64 exec, s[20:21]                                   // 000000012218: BEFE0114
	global_atomic_add_f32 v6, v129, s[8:9]                     // 00000001221C: DD348000 00088106
	global_atomic_add_f32 v6, v133, s[8:9] offset:256          // 000000012224: DD348100 00088506
	s_mov_b64 exec, s[36:37]                                   // 00000001222C: BEFE0124
	v_mov_b32_e32 v6, v78                                      // 000000012230: 7E0C034E
	s_mov_b64 s[60:61], 0                                      // 000000012234: BEBC0180
	v_readlane_b32 s82, v3, 24                                 // 000000012238: D2890052 00013103
	s_and_b32 s82, s82, 0xffffff                               // 000000012240: 8652FF52 00FFFFFF
	s_cmp_lt_u32 s82, s66                                      // 000000012248: BF0A4252
	s_cselect_b32 s20, s36, s60                                // 00000001224C: 85143C24
	v_readlane_b32 s82, v3, 25                                 // 000000012250: D2890052 00013303
	s_and_b32 s82, s82, 0xffffff                               // 000000012258: 8652FF52 00FFFFFF
	s_cmp_lt_u32 s82, s66                                      // 000000012260: BF0A4252
	s_cselect_b32 s21, s36, s60                                // 000000012264: 85153C24
	s_mov_b64 exec, s[20:21]                                   // 000000012268: BEFE0114
	global_atomic_add_f32 v6, v136, s[8:9]                     // 00000001226C: DD348000 00088806
	global_atomic_add_f32 v6, v140, s[8:9] offset:256          // 000000012274: DD348100 00088C06
	s_mov_b64 exec, s[36:37]                                   // 00000001227C: BEFE0124
	v_mov_b32_e32 v6, v79                                      // 000000012280: 7E0C034F
	s_mov_b64 s[60:61], 0                                      // 000000012284: BEBC0180
	v_readlane_b32 s82, v3, 26                                 // 000000012288: D2890052 00013503
	s_and_b32 s82, s82, 0xffffff                               // 000000012290: 8652FF52 00FFFFFF
	s_cmp_lt_u32 s82, s66                                      // 000000012298: BF0A4252
	s_cselect_b32 s20, s36, s60                                // 00000001229C: 85143C24
	v_readlane_b32 s82, v3, 27                                 // 0000000122A0: D2890052 00013703
	s_and_b32 s82, s82, 0xffffff                               // 0000000122A8: 8652FF52 00FFFFFF
	s_cmp_lt_u32 s82, s66                                      // 0000000122B0: BF0A4252
	s_cselect_b32 s21, s36, s60                                // 0000000122B4: 85153C24
	s_mov_b64 exec, s[20:21]                                   // 0000000122B8: BEFE0114
	global_atomic_add_f32 v6, v137, s[8:9]                     // 0000000122BC: DD348000 00088906
	global_atomic_add_f32 v6, v141, s[8:9] offset:256          // 0000000122C4: DD348100 00088D06
	s_mov_b64 exec, s[36:37]                                   // 0000000122CC: BEFE0124
	v_mov_b32_e32 v6, v80                                      // 0000000122D0: 7E0C0350
	s_mov_b64 s[60:61], 0                                      // 0000000122D4: BEBC0180
	v_readlane_b32 s82, v3, 28                                 // 0000000122D8: D2890052 00013903
	s_and_b32 s82, s82, 0xffffff                               // 0000000122E0: 8652FF52 00FFFFFF
	s_cmp_lt_u32 s82, s66                                      // 0000000122E8: BF0A4252
	s_cselect_b32 s20, s36, s60                                // 0000000122EC: 85143C24
	v_readlane_b32 s82, v3, 29                                 // 0000000122F0: D2890052 00013B03
	s_and_b32 s82, s82, 0xffffff                               // 0000000122F8: 8652FF52 00FFFFFF
	s_cmp_lt_u32 s82, s66                                      // 000000012300: BF0A4252
	s_cselect_b32 s21, s36, s60                                // 000000012304: 85153C24
	s_mov_b64 exec, s[20:21]                                   // 000000012308: BEFE0114
	global_atomic_add_f32 v6, v144, s[8:9]                     // 00000001230C: DD348000 00089006
	global_atomic_add_f32 v6, v148, s[8:9] offset:256          // 000000012314: DD348100 00089406
	s_mov_b64 exec, s[36:37]                                   // 00000001231C: BEFE0124
	v_mov_b32_e32 v6, v81                                      // 000000012320: 7E0C0351
	s_mov_b64 s[60:61], 0                                      // 000000012324: BEBC0180
	v_readlane_b32 s82, v3, 30                                 // 000000012328: D2890052 00013D03
	s_and_b32 s82, s82, 0xffffff                               // 000000012330: 8652FF52 00FFFFFF
	s_cmp_lt_u32 s82, s66                                      // 000000012338: BF0A4252
	s_cselect_b32 s20, s36, s60                                // 00000001233C: 85143C24
	v_readlane_b32 s82, v3, 31                                 // 000000012340: D2890052 00013F03
	s_and_b32 s82, s82, 0xffffff                               // 000000012348: 8652FF52 00FFFFFF
	s_cmp_lt_u32 s82, s66                                      // 000000012350: BF0A4252
	s_cselect_b32 s21, s36, s60                                // 000000012354: 85153C24
	s_mov_b64 exec, s[20:21]                                   // 000000012358: BEFE0114
	global_atomic_add_f32 v6, v145, s[8:9]                     // 00000001235C: DD348000 00089106
	global_atomic_add_f32 v6, v149, s[8:9] offset:256          // 000000012364: DD348100 00089506
	s_mov_b64 exec, s[36:37]                                   // 00000001236C: BEFE0124
	v_mov_b32_e32 v6, v82                                      // 000000012370: 7E0C0352
	s_mov_b64 s[60:61], 0                                      // 000000012374: BEBC0180
	v_readlane_b32 s82, v3, 32                                 // 000000012378: D2890052 00014103
	s_and_b32 s82, s82, 0xffffff                               // 000000012380: 8652FF52 00FFFFFF
	s_cmp_lt_u32 s82, s66                                      // 000000012388: BF0A4252
	s_cselect_b32 s20, s36, s60                                // 00000001238C: 85143C24
	v_readlane_b32 s82, v3, 33                                 // 000000012390: D2890052 00014303
	s_and_b32 s82, s82, 0xffffff                               // 000000012398: 8652FF52 00FFFFFF
	s_cmp_lt_u32 s82, s66                                      // 0000000123A0: BF0A4252
	s_cselect_b32 s21, s36, s60                                // 0000000123A4: 85153C24
	s_mov_b64 exec, s[20:21]                                   // 0000000123A8: BEFE0114
	global_atomic_add_f32 v6, v152, s[8:9]                     // 0000000123AC: DD348000 00089806
	global_atomic_add_f32 v6, v156, s[8:9] offset:256          // 0000000123B4: DD348100 00089C06
	s_mov_b64 exec, s[36:37]                                   // 0000000123BC: BEFE0124
	v_mov_b32_e32 v6, v83                                      // 0000000123C0: 7E0C0353
	s_mov_b64 s[60:61], 0                                      // 0000000123C4: BEBC0180
	v_readlane_b32 s82, v3, 34                                 // 0000000123C8: D2890052 00014503
	s_and_b32 s82, s82, 0xffffff                               // 0000000123D0: 8652FF52 00FFFFFF
	s_cmp_lt_u32 s82, s66                                      // 0000000123D8: BF0A4252
	s_cselect_b32 s20, s36, s60                                // 0000000123DC: 85143C24
	v_readlane_b32 s82, v3, 35                                 // 0000000123E0: D2890052 00014703
	s_and_b32 s82, s82, 0xffffff                               // 0000000123E8: 8652FF52 00FFFFFF
	s_cmp_lt_u32 s82, s66                                      // 0000000123F0: BF0A4252
	s_cselect_b32 s21, s36, s60                                // 0000000123F4: 85153C24
	s_mov_b64 exec, s[20:21]                                   // 0000000123F8: BEFE0114
	global_atomic_add_f32 v6, v153, s[8:9]                     // 0000000123FC: DD348000 00089906
	global_atomic_add_f32 v6, v157, s[8:9] offset:256          // 000000012404: DD348100 00089D06
	s_mov_b64 exec, s[36:37]                                   // 00000001240C: BEFE0124
	ds_write_b64 v20, v[90:91]                                 // 000000012410: D89A0000 00005A14
	ds_write_b64 v20, v[94:95] offset:4352                     // 000000012418: D89A1100 00005E14
	ds_write_b64 v20, v[98:99] offset:8704                     // 000000012420: D89A2200 00006214
	ds_write_b64 v20, v[102:103] offset:13056                  // 000000012428: D89A3300 00006614
	ds_write_b64 v20, v[106:107] offset:17408                  // 000000012430: D89A4400 00006A14
	ds_write_b64 v20, v[110:111] offset:21760                  // 000000012438: D89A5500 00006E14
	ds_write_b64 v20, v[114:115] offset:26112                  // 000000012440: D89A6600 00007214
	ds_write_b64 v20, v[118:119] offset:30464                  // 000000012448: D89A7700 00007614
	ds_write_b64 v20, v[122:123] offset:34816                  // 000000012450: D89A8800 00007A14
	ds_write_b64 v20, v[126:127] offset:2176                   // 000000012458: D89A0880 00007E14
	ds_write_b64 v20, v[130:131] offset:6528                   // 000000012460: D89A1980 00008214
	ds_write_b64 v20, v[134:135] offset:10880                  // 000000012468: D89A2A80 00008614
	ds_write_b64 v20, v[138:139] offset:15232                  // 000000012470: D89A3B80 00008A14
	ds_write_b64 v20, v[142:143] offset:19584                  // 000000012478: D89A4C80 00008E14
	ds_write_b64 v20, v[146:147] offset:23936                  // 000000012480: D89A5D80 00009214
	ds_write_b64 v20, v[150:151] offset:28288                  // 000000012488: D89A6E80 00009614
	ds_write_b64 v20, v[154:155] offset:32640                  // 000000012490: D89A7F80 00009A14
	ds_write_b64 v20, v[158:159] offset:36992                  // 000000012498: D89A9080 00009E14
	s_waitcnt lgkmcnt(0)                                       // 0000000124A0: BF8CC07F
	s_barrier                                                  // 0000000124A4: BF8A0000
	ds_read_b32 v90, v21                                       // 0000000124A8: D86C0000 5A000015
	ds_read_b32 v91, v21 offset:64                             // 0000000124B0: D86C0040 5B000015
	ds_read_b32 v94, v21 offset:2176                           // 0000000124B8: D86C0880 5E000015
	ds_read_b32 v95, v21 offset:2240                           // 0000000124C0: D86C08C0 5F000015
	ds_read_b32 v98, v21 offset:4352                           // 0000000124C8: D86C1100 62000015
	ds_read_b32 v99, v21 offset:4416                           // 0000000124D0: D86C1140 63000015
	ds_read_b32 v102, v21 offset:6528                          // 0000000124D8: D86C1980 66000015
	ds_read_b32 v103, v21 offset:6592                          // 0000000124E0: D86C19C0 67000015
	ds_read_b32 v106, v21 offset:8704                          // 0000000124E8: D86C2200 6A000015
	ds_read_b32 v107, v21 offset:8768                          // 0000000124F0: D86C2240 6B000015
	ds_read_b32 v110, v21 offset:10880                         // 0000000124F8: D86C2A80 6E000015
	ds_read_b32 v111, v21 offset:10944                         // 000000012500: D86C2AC0 6F000015
	ds_read_b32 v114, v21 offset:13056                         // 000000012508: D86C3300 72000015
	ds_read_b32 v115, v21 offset:13120                         // 000000012510: D86C3340 73000015
	ds_read_b32 v118, v21 offset:15232                         // 000000012518: D86C3B80 76000015
	ds_read_b32 v119, v21 offset:15296                         // 000000012520: D86C3BC0 77000015
	ds_read_b32 v122, v21 offset:17408                         // 000000012528: D86C4400 7A000015
	ds_read_b32 v123, v21 offset:17472                         // 000000012530: D86C4440 7B000015
	ds_read_b32 v126, v21 offset:19584                         // 000000012538: D86C4C80 7E000015
	ds_read_b32 v127, v21 offset:19648                         // 000000012540: D86C4CC0 7F000015
	ds_read_b32 v130, v21 offset:21760                         // 000000012548: D86C5500 82000015
	ds_read_b32 v131, v21 offset:21824                         // 000000012550: D86C5540 83000015
	ds_read_b32 v134, v21 offset:23936                         // 000000012558: D86C5D80 86000015
	ds_read_b32 v135, v21 offset:24000                         // 000000012560: D86C5DC0 87000015
	ds_read_b32 v138, v21 offset:26112                         // 000000012568: D86C6600 8A000015
	ds_read_b32 v139, v21 offset:26176                         // 000000012570: D86C6640 8B000015
	ds_read_b32 v142, v21 offset:28288                         // 000000012578: D86C6E80 8E000015
	ds_read_b32 v143, v21 offset:28352                         // 000000012580: D86C6EC0 8F000015
	ds_read_b32 v146, v21 offset:30464                         // 000000012588: D86C7700 92000015
	ds_read_b32 v147, v21 offset:30528                         // 000000012590: D86C7740 93000015
	ds_read_b32 v150, v21 offset:32640                         // 000000012598: D86C7F80 96000015
	ds_read_b32 v151, v21 offset:32704                         // 0000000125A0: D86C7FC0 97000015
	ds_read_b32 v154, v21 offset:34816                         // 0000000125A8: D86C8800 9A000015
	ds_read_b32 v155, v21 offset:34880                         // 0000000125B0: D86C8840 9B000015
	ds_read_b32 v158, v21 offset:36992                         // 0000000125B8: D86C9080 9E000015
	ds_read_b32 v159, v21 offset:37056                         // 0000000125C0: D86C90C0 9F000015
	s_waitcnt lgkmcnt(0)                                       // 0000000125C8: BF8CC07F
	v_mov_b32_e32 v7, 0                                        // 0000000125CC: 7E0E0280
	s_mov_b64 exec, s[36:37]                                   // 0000000125D0: BEFE0124
	v_mov_b32_e32 v6, v66                                      // 0000000125D4: 7E0C0342
	s_mov_b64 s[60:61], 0                                      // 0000000125D8: BEBC0180
	v_readlane_b32 s82, v3, 0                                  // 0000000125DC: D2890052 00010103
	s_and_b32 s82, s82, 0xffffff                               // 0000000125E4: 8652FF52 00FFFFFF
	s_cmp_lt_u32 s82, s66                                      // 0000000125EC: BF0A4252
	s_cselect_b32 s20, s36, s60                                // 0000000125F0: 85143C24
	v_readlane_b32 s82, v3, 1                                  // 0000000125F4: D2890052 00010303
	s_and_b32 s82, s82, 0xffffff                               // 0000000125FC: 8652FF52 00FFFFFF
	s_cmp_lt_u32 s82, s66                                      // 000000012604: BF0A4252
	s_cselect_b32 s21, s36, s60                                // 000000012608: 85153C24
	s_mov_b64 exec, s[20:21]                                   // 00000001260C: BEFE0114
	global_atomic_add_f32 v6, v90, s[8:9] offset:8             // 000000012610: DD348008 00085A06
	global_atomic_add_f32 v6, v94, s[8:9] offset:264           // 000000012618: DD348108 00085E06
	s_mov_b64 exec, s[36:37]                                   // 000000012620: BEFE0124
	v_mov_b32_e32 v6, v67                                      // 000000012624: 7E0C0343
	s_mov_b64 s[60:61], 0                                      // 000000012628: BEBC0180
	v_readlane_b32 s82, v3, 2                                  // 00000001262C: D2890052 00010503
	s_and_b32 s82, s82, 0xffffff                               // 000000012634: 8652FF52 00FFFFFF
	s_cmp_lt_u32 s82, s66                                      // 00000001263C: BF0A4252
	s_cselect_b32 s20, s36, s60                                // 000000012640: 85143C24
	v_readlane_b32 s82, v3, 3                                  // 000000012644: D2890052 00010703
	s_and_b32 s82, s82, 0xffffff                               // 00000001264C: 8652FF52 00FFFFFF
	s_cmp_lt_u32 s82, s66                                      // 000000012654: BF0A4252
	s_cselect_b32 s21, s36, s60                                // 000000012658: 85153C24
	s_mov_b64 exec, s[20:21]                                   // 00000001265C: BEFE0114
	global_atomic_add_f32 v6, v91, s[8:9] offset:8             // 000000012660: DD348008 00085B06
	global_atomic_add_f32 v6, v95, s[8:9] offset:264           // 000000012668: DD348108 00085F06
	s_mov_b64 exec, s[36:37]                                   // 000000012670: BEFE0124
	v_mov_b32_e32 v6, v68                                      // 000000012674: 7E0C0344
	s_mov_b64 s[60:61], 0                                      // 000000012678: BEBC0180
	v_readlane_b32 s82, v3, 4                                  // 00000001267C: D2890052 00010903
	s_and_b32 s82, s82, 0xffffff                               // 000000012684: 8652FF52 00FFFFFF
	s_cmp_lt_u32 s82, s66                                      // 00000001268C: BF0A4252
	s_cselect_b32 s20, s36, s60                                // 000000012690: 85143C24
	v_readlane_b32 s82, v3, 5                                  // 000000012694: D2890052 00010B03
	s_and_b32 s82, s82, 0xffffff                               // 00000001269C: 8652FF52 00FFFFFF
	s_cmp_lt_u32 s82, s66                                      // 0000000126A4: BF0A4252
	s_cselect_b32 s21, s36, s60                                // 0000000126A8: 85153C24
	s_mov_b64 exec, s[20:21]                                   // 0000000126AC: BEFE0114
	global_atomic_add_f32 v6, v98, s[8:9] offset:8             // 0000000126B0: DD348008 00086206
	global_atomic_add_f32 v6, v102, s[8:9] offset:264          // 0000000126B8: DD348108 00086606
	s_mov_b64 exec, s[36:37]                                   // 0000000126C0: BEFE0124
	v_mov_b32_e32 v6, v69                                      // 0000000126C4: 7E0C0345
	s_mov_b64 s[60:61], 0                                      // 0000000126C8: BEBC0180
	v_readlane_b32 s82, v3, 6                                  // 0000000126CC: D2890052 00010D03
	s_and_b32 s82, s82, 0xffffff                               // 0000000126D4: 8652FF52 00FFFFFF
	s_cmp_lt_u32 s82, s66                                      // 0000000126DC: BF0A4252
	s_cselect_b32 s20, s36, s60                                // 0000000126E0: 85143C24
	v_readlane_b32 s82, v3, 7                                  // 0000000126E4: D2890052 00010F03
	s_and_b32 s82, s82, 0xffffff                               // 0000000126EC: 8652FF52 00FFFFFF
	s_cmp_lt_u32 s82, s66                                      // 0000000126F4: BF0A4252
	s_cselect_b32 s21, s36, s60                                // 0000000126F8: 85153C24
	s_mov_b64 exec, s[20:21]                                   // 0000000126FC: BEFE0114
	global_atomic_add_f32 v6, v99, s[8:9] offset:8             // 000000012700: DD348008 00086306
	global_atomic_add_f32 v6, v103, s[8:9] offset:264          // 000000012708: DD348108 00086706
	s_mov_b64 exec, s[36:37]                                   // 000000012710: BEFE0124
	v_mov_b32_e32 v6, v70                                      // 000000012714: 7E0C0346
	s_mov_b64 s[60:61], 0                                      // 000000012718: BEBC0180
	v_readlane_b32 s82, v3, 8                                  // 00000001271C: D2890052 00011103
	s_and_b32 s82, s82, 0xffffff                               // 000000012724: 8652FF52 00FFFFFF
	s_cmp_lt_u32 s82, s66                                      // 00000001272C: BF0A4252
	s_cselect_b32 s20, s36, s60                                // 000000012730: 85143C24
	v_readlane_b32 s82, v3, 9                                  // 000000012734: D2890052 00011303
	s_and_b32 s82, s82, 0xffffff                               // 00000001273C: 8652FF52 00FFFFFF
	s_cmp_lt_u32 s82, s66                                      // 000000012744: BF0A4252
	s_cselect_b32 s21, s36, s60                                // 000000012748: 85153C24
	s_mov_b64 exec, s[20:21]                                   // 00000001274C: BEFE0114
	global_atomic_add_f32 v6, v106, s[8:9] offset:8            // 000000012750: DD348008 00086A06
	global_atomic_add_f32 v6, v110, s[8:9] offset:264          // 000000012758: DD348108 00086E06
	s_mov_b64 exec, s[36:37]                                   // 000000012760: BEFE0124
	v_mov_b32_e32 v6, v71                                      // 000000012764: 7E0C0347
	s_mov_b64 s[60:61], 0                                      // 000000012768: BEBC0180
	v_readlane_b32 s82, v3, 10                                 // 00000001276C: D2890052 00011503
	s_and_b32 s82, s82, 0xffffff                               // 000000012774: 8652FF52 00FFFFFF
	s_cmp_lt_u32 s82, s66                                      // 00000001277C: BF0A4252
	s_cselect_b32 s20, s36, s60                                // 000000012780: 85143C24
	v_readlane_b32 s82, v3, 11                                 // 000000012784: D2890052 00011703
	s_and_b32 s82, s82, 0xffffff                               // 00000001278C: 8652FF52 00FFFFFF
	s_cmp_lt_u32 s82, s66                                      // 000000012794: BF0A4252
	s_cselect_b32 s21, s36, s60                                // 000000012798: 85153C24
	s_mov_b64 exec, s[20:21]                                   // 00000001279C: BEFE0114
	global_atomic_add_f32 v6, v107, s[8:9] offset:8            // 0000000127A0: DD348008 00086B06
	global_atomic_add_f32 v6, v111, s[8:9] offset:264          // 0000000127A8: DD348108 00086F06
	s_mov_b64 exec, s[36:37]                                   // 0000000127B0: BEFE0124
	v_mov_b32_e32 v6, v72                                      // 0000000127B4: 7E0C0348
	s_mov_b64 s[60:61], 0                                      // 0000000127B8: BEBC0180
	v_readlane_b32 s82, v3, 12                                 // 0000000127BC: D2890052 00011903
	s_and_b32 s82, s82, 0xffffff                               // 0000000127C4: 8652FF52 00FFFFFF
	s_cmp_lt_u32 s82, s66                                      // 0000000127CC: BF0A4252
	s_cselect_b32 s20, s36, s60                                // 0000000127D0: 85143C24
	v_readlane_b32 s82, v3, 13                                 // 0000000127D4: D2890052 00011B03
	s_and_b32 s82, s82, 0xffffff                               // 0000000127DC: 8652FF52 00FFFFFF
	s_cmp_lt_u32 s82, s66                                      // 0000000127E4: BF0A4252
	s_cselect_b32 s21, s36, s60                                // 0000000127E8: 85153C24
	s_mov_b64 exec, s[20:21]                                   // 0000000127EC: BEFE0114
	global_atomic_add_f32 v6, v114, s[8:9] offset:8            // 0000000127F0: DD348008 00087206
	global_atomic_add_f32 v6, v118, s[8:9] offset:264          // 0000000127F8: DD348108 00087606
	s_mov_b64 exec, s[36:37]                                   // 000000012800: BEFE0124
	v_mov_b32_e32 v6, v73                                      // 000000012804: 7E0C0349
	s_mov_b64 s[60:61], 0                                      // 000000012808: BEBC0180
	v_readlane_b32 s82, v3, 14                                 // 00000001280C: D2890052 00011D03
	s_and_b32 s82, s82, 0xffffff                               // 000000012814: 8652FF52 00FFFFFF
	s_cmp_lt_u32 s82, s66                                      // 00000001281C: BF0A4252
	s_cselect_b32 s20, s36, s60                                // 000000012820: 85143C24
	v_readlane_b32 s82, v3, 15                                 // 000000012824: D2890052 00011F03
	s_and_b32 s82, s82, 0xffffff                               // 00000001282C: 8652FF52 00FFFFFF
	s_cmp_lt_u32 s82, s66                                      // 000000012834: BF0A4252
	s_cselect_b32 s21, s36, s60                                // 000000012838: 85153C24
	s_mov_b64 exec, s[20:21]                                   // 00000001283C: BEFE0114
	global_atomic_add_f32 v6, v115, s[8:9] offset:8            // 000000012840: DD348008 00087306
	global_atomic_add_f32 v6, v119, s[8:9] offset:264          // 000000012848: DD348108 00087706
	s_mov_b64 exec, s[36:37]                                   // 000000012850: BEFE0124
	v_mov_b32_e32 v6, v74                                      // 000000012854: 7E0C034A
	s_mov_b64 s[60:61], 0                                      // 000000012858: BEBC0180
	v_readlane_b32 s82, v3, 16                                 // 00000001285C: D2890052 00012103
	s_and_b32 s82, s82, 0xffffff                               // 000000012864: 8652FF52 00FFFFFF
	s_cmp_lt_u32 s82, s66                                      // 00000001286C: BF0A4252
	s_cselect_b32 s20, s36, s60                                // 000000012870: 85143C24
	v_readlane_b32 s82, v3, 17                                 // 000000012874: D2890052 00012303
	s_and_b32 s82, s82, 0xffffff                               // 00000001287C: 8652FF52 00FFFFFF
	s_cmp_lt_u32 s82, s66                                      // 000000012884: BF0A4252
	s_cselect_b32 s21, s36, s60                                // 000000012888: 85153C24
	s_mov_b64 exec, s[20:21]                                   // 00000001288C: BEFE0114
	global_atomic_add_f32 v6, v122, s[8:9] offset:8            // 000000012890: DD348008 00087A06
	global_atomic_add_f32 v6, v126, s[8:9] offset:264          // 000000012898: DD348108 00087E06
	s_mov_b64 exec, s[36:37]                                   // 0000000128A0: BEFE0124
	v_mov_b32_e32 v6, v75                                      // 0000000128A4: 7E0C034B
	s_mov_b64 s[60:61], 0                                      // 0000000128A8: BEBC0180
	v_readlane_b32 s82, v3, 18                                 // 0000000128AC: D2890052 00012503
	s_and_b32 s82, s82, 0xffffff                               // 0000000128B4: 8652FF52 00FFFFFF
	s_cmp_lt_u32 s82, s66                                      // 0000000128BC: BF0A4252
	s_cselect_b32 s20, s36, s60                                // 0000000128C0: 85143C24
	v_readlane_b32 s82, v3, 19                                 // 0000000128C4: D2890052 00012703
	s_and_b32 s82, s82, 0xffffff                               // 0000000128CC: 8652FF52 00FFFFFF
	s_cmp_lt_u32 s82, s66                                      // 0000000128D4: BF0A4252
	s_cselect_b32 s21, s36, s60                                // 0000000128D8: 85153C24
	s_mov_b64 exec, s[20:21]                                   // 0000000128DC: BEFE0114
	global_atomic_add_f32 v6, v123, s[8:9] offset:8            // 0000000128E0: DD348008 00087B06
	global_atomic_add_f32 v6, v127, s[8:9] offset:264          // 0000000128E8: DD348108 00087F06
	s_mov_b64 exec, s[36:37]                                   // 0000000128F0: BEFE0124
	v_mov_b32_e32 v6, v76                                      // 0000000128F4: 7E0C034C
	s_mov_b64 s[60:61], 0                                      // 0000000128F8: BEBC0180
	v_readlane_b32 s82, v3, 20                                 // 0000000128FC: D2890052 00012903
	s_and_b32 s82, s82, 0xffffff                               // 000000012904: 8652FF52 00FFFFFF
	s_cmp_lt_u32 s82, s66                                      // 00000001290C: BF0A4252
	s_cselect_b32 s20, s36, s60                                // 000000012910: 85143C24
	v_readlane_b32 s82, v3, 21                                 // 000000012914: D2890052 00012B03
	s_and_b32 s82, s82, 0xffffff                               // 00000001291C: 8652FF52 00FFFFFF
	s_cmp_lt_u32 s82, s66                                      // 000000012924: BF0A4252
	s_cselect_b32 s21, s36, s60                                // 000000012928: 85153C24
	s_mov_b64 exec, s[20:21]                                   // 00000001292C: BEFE0114
	global_atomic_add_f32 v6, v130, s[8:9] offset:8            // 000000012930: DD348008 00088206
	global_atomic_add_f32 v6, v134, s[8:9] offset:264          // 000000012938: DD348108 00088606
	s_mov_b64 exec, s[36:37]                                   // 000000012940: BEFE0124
	v_mov_b32_e32 v6, v77                                      // 000000012944: 7E0C034D
	s_mov_b64 s[60:61], 0                                      // 000000012948: BEBC0180
	v_readlane_b32 s82, v3, 22                                 // 00000001294C: D2890052 00012D03
	s_and_b32 s82, s82, 0xffffff                               // 000000012954: 8652FF52 00FFFFFF
	s_cmp_lt_u32 s82, s66                                      // 00000001295C: BF0A4252
	s_cselect_b32 s20, s36, s60                                // 000000012960: 85143C24
	v_readlane_b32 s82, v3, 23                                 // 000000012964: D2890052 00012F03
	s_and_b32 s82, s82, 0xffffff                               // 00000001296C: 8652FF52 00FFFFFF
	s_cmp_lt_u32 s82, s66                                      // 000000012974: BF0A4252
	s_cselect_b32 s21, s36, s60                                // 000000012978: 85153C24
	s_mov_b64 exec, s[20:21]                                   // 00000001297C: BEFE0114
	global_atomic_add_f32 v6, v131, s[8:9] offset:8            // 000000012980: DD348008 00088306
	global_atomic_add_f32 v6, v135, s[8:9] offset:264          // 000000012988: DD348108 00088706
	s_mov_b64 exec, s[36:37]                                   // 000000012990: BEFE0124
	v_mov_b32_e32 v6, v78                                      // 000000012994: 7E0C034E
	s_mov_b64 s[60:61], 0                                      // 000000012998: BEBC0180
	v_readlane_b32 s82, v3, 24                                 // 00000001299C: D2890052 00013103
	s_and_b32 s82, s82, 0xffffff                               // 0000000129A4: 8652FF52 00FFFFFF
	s_cmp_lt_u32 s82, s66                                      // 0000000129AC: BF0A4252
	s_cselect_b32 s20, s36, s60                                // 0000000129B0: 85143C24
	v_readlane_b32 s82, v3, 25                                 // 0000000129B4: D2890052 00013303
	s_and_b32 s82, s82, 0xffffff                               // 0000000129BC: 8652FF52 00FFFFFF
	s_cmp_lt_u32 s82, s66                                      // 0000000129C4: BF0A4252
	s_cselect_b32 s21, s36, s60                                // 0000000129C8: 85153C24
	s_mov_b64 exec, s[20:21]                                   // 0000000129CC: BEFE0114
	global_atomic_add_f32 v6, v138, s[8:9] offset:8            // 0000000129D0: DD348008 00088A06
	global_atomic_add_f32 v6, v142, s[8:9] offset:264          // 0000000129D8: DD348108 00088E06
	s_mov_b64 exec, s[36:37]                                   // 0000000129E0: BEFE0124
	v_mov_b32_e32 v6, v79                                      // 0000000129E4: 7E0C034F
	s_mov_b64 s[60:61], 0                                      // 0000000129E8: BEBC0180
	v_readlane_b32 s82, v3, 26                                 // 0000000129EC: D2890052 00013503
	s_and_b32 s82, s82, 0xffffff                               // 0000000129F4: 8652FF52 00FFFFFF
	s_cmp_lt_u32 s82, s66                                      // 0000000129FC: BF0A4252
	s_cselect_b32 s20, s36, s60                                // 000000012A00: 85143C24
	v_readlane_b32 s82, v3, 27                                 // 000000012A04: D2890052 00013703
	s_and_b32 s82, s82, 0xffffff                               // 000000012A0C: 8652FF52 00FFFFFF
	s_cmp_lt_u32 s82, s66                                      // 000000012A14: BF0A4252
	s_cselect_b32 s21, s36, s60                                // 000000012A18: 85153C24
	s_mov_b64 exec, s[20:21]                                   // 000000012A1C: BEFE0114
	global_atomic_add_f32 v6, v139, s[8:9] offset:8            // 000000012A20: DD348008 00088B06
	global_atomic_add_f32 v6, v143, s[8:9] offset:264          // 000000012A28: DD348108 00088F06
	s_mov_b64 exec, s[36:37]                                   // 000000012A30: BEFE0124
	v_mov_b32_e32 v6, v80                                      // 000000012A34: 7E0C0350
	s_mov_b64 s[60:61], 0                                      // 000000012A38: BEBC0180
	v_readlane_b32 s82, v3, 28                                 // 000000012A3C: D2890052 00013903
	s_and_b32 s82, s82, 0xffffff                               // 000000012A44: 8652FF52 00FFFFFF
	s_cmp_lt_u32 s82, s66                                      // 000000012A4C: BF0A4252
	s_cselect_b32 s20, s36, s60                                // 000000012A50: 85143C24
	v_readlane_b32 s82, v3, 29                                 // 000000012A54: D2890052 00013B03
	s_and_b32 s82, s82, 0xffffff                               // 000000012A5C: 8652FF52 00FFFFFF
	s_cmp_lt_u32 s82, s66                                      // 000000012A64: BF0A4252
	s_cselect_b32 s21, s36, s60                                // 000000012A68: 85153C24
	s_mov_b64 exec, s[20:21]                                   // 000000012A6C: BEFE0114
	global_atomic_add_f32 v6, v146, s[8:9] offset:8            // 000000012A70: DD348008 00089206
	global_atomic_add_f32 v6, v150, s[8:9] offset:264          // 000000012A78: DD348108 00089606
	s_mov_b64 exec, s[36:37]                                   // 000000012A80: BEFE0124
	v_mov_b32_e32 v6, v81                                      // 000000012A84: 7E0C0351
	s_mov_b64 s[60:61], 0                                      // 000000012A88: BEBC0180
	v_readlane_b32 s82, v3, 30                                 // 000000012A8C: D2890052 00013D03
	s_and_b32 s82, s82, 0xffffff                               // 000000012A94: 8652FF52 00FFFFFF
	s_cmp_lt_u32 s82, s66                                      // 000000012A9C: BF0A4252
	s_cselect_b32 s20, s36, s60                                // 000000012AA0: 85143C24
	v_readlane_b32 s82, v3, 31                                 // 000000012AA4: D2890052 00013F03
	s_and_b32 s82, s82, 0xffffff                               // 000000012AAC: 8652FF52 00FFFFFF
	s_cmp_lt_u32 s82, s66                                      // 000000012AB4: BF0A4252
	s_cselect_b32 s21, s36, s60                                // 000000012AB8: 85153C24
	s_mov_b64 exec, s[20:21]                                   // 000000012ABC: BEFE0114
	global_atomic_add_f32 v6, v147, s[8:9] offset:8            // 000000012AC0: DD348008 00089306
	global_atomic_add_f32 v6, v151, s[8:9] offset:264          // 000000012AC8: DD348108 00089706
	s_mov_b64 exec, s[36:37]                                   // 000000012AD0: BEFE0124
	v_mov_b32_e32 v6, v82                                      // 000000012AD4: 7E0C0352
	s_mov_b64 s[60:61], 0                                      // 000000012AD8: BEBC0180
	v_readlane_b32 s82, v3, 32                                 // 000000012ADC: D2890052 00014103
	s_and_b32 s82, s82, 0xffffff                               // 000000012AE4: 8652FF52 00FFFFFF
	s_cmp_lt_u32 s82, s66                                      // 000000012AEC: BF0A4252
	s_cselect_b32 s20, s36, s60                                // 000000012AF0: 85143C24
	v_readlane_b32 s82, v3, 33                                 // 000000012AF4: D2890052 00014303
	s_and_b32 s82, s82, 0xffffff                               // 000000012AFC: 8652FF52 00FFFFFF
	s_cmp_lt_u32 s82, s66                                      // 000000012B04: BF0A4252
	s_cselect_b32 s21, s36, s60                                // 000000012B08: 85153C24
	s_mov_b64 exec, s[20:21]                                   // 000000012B0C: BEFE0114
	global_atomic_add_f32 v6, v154, s[8:9] offset:8            // 000000012B10: DD348008 00089A06
	global_atomic_add_f32 v6, v158, s[8:9] offset:264          // 000000012B18: DD348108 00089E06
	s_mov_b64 exec, s[36:37]                                   // 000000012B20: BEFE0124
	v_mov_b32_e32 v6, v83                                      // 000000012B24: 7E0C0353
	s_mov_b64 s[60:61], 0                                      // 000000012B28: BEBC0180
	v_readlane_b32 s82, v3, 34                                 // 000000012B2C: D2890052 00014503
	s_and_b32 s82, s82, 0xffffff                               // 000000012B34: 8652FF52 00FFFFFF
	s_cmp_lt_u32 s82, s66                                      // 000000012B3C: BF0A4252
	s_cselect_b32 s20, s36, s60                                // 000000012B40: 85143C24
	v_readlane_b32 s82, v3, 35                                 // 000000012B44: D2890052 00014703
	s_and_b32 s82, s82, 0xffffff                               // 000000012B4C: 8652FF52 00FFFFFF
	s_cmp_lt_u32 s82, s66                                      // 000000012B54: BF0A4252
	s_cselect_b32 s21, s36, s60                                // 000000012B58: 85153C24
	s_mov_b64 exec, s[20:21]                                   // 000000012B5C: BEFE0114
	global_atomic_add_f32 v6, v155, s[8:9] offset:8            // 000000012B60: DD348008 00089B06
	global_atomic_add_f32 v6, v159, s[8:9] offset:264          // 000000012B68: DD348108 00089F06
	s_mov_b64 exec, s[36:37]                                   // 000000012B70: BEFE0124
	ds_write_b64 v20, v[160:161]                               // 000000012B74: D89A0000 0000A014
	ds_write_b64 v20, v[164:165] offset:4352                   // 000000012B7C: D89A1100 0000A414
	ds_write_b64 v20, v[168:169] offset:8704                   // 000000012B84: D89A2200 0000A814
	ds_write_b64 v20, v[172:173] offset:13056                  // 000000012B8C: D89A3300 0000AC14
	ds_write_b64 v20, v[176:177] offset:17408                  // 000000012B94: D89A4400 0000B014
	ds_write_b64 v20, v[180:181] offset:21760                  // 000000012B9C: D89A5500 0000B414
	ds_write_b64 v20, v[184:185] offset:26112                  // 000000012BA4: D89A6600 0000B814
	ds_write_b64 v20, v[188:189] offset:30464                  // 000000012BAC: D89A7700 0000BC14
	ds_write_b64 v20, v[192:193] offset:34816                  // 000000012BB4: D89A8800 0000C014
	ds_write_b64 v20, v[196:197] offset:2176                   // 000000012BBC: D89A0880 0000C414
	ds_write_b64 v20, v[200:201] offset:6528                   // 000000012BC4: D89A1980 0000C814
	ds_write_b64 v20, v[204:205] offset:10880                  // 000000012BCC: D89A2A80 0000CC14
	ds_write_b64 v20, v[208:209] offset:15232                  // 000000012BD4: D89A3B80 0000D014
	ds_write_b64 v20, v[212:213] offset:19584                  // 000000012BDC: D89A4C80 0000D414
	ds_write_b64 v20, v[216:217] offset:23936                  // 000000012BE4: D89A5D80 0000D814
	ds_write_b64 v20, v[220:221] offset:28288                  // 000000012BEC: D89A6E80 0000DC14
	ds_write_b64 v20, v[224:225] offset:32640                  // 000000012BF4: D89A7F80 0000E014
	ds_write_b64 v20, v[228:229] offset:36992                  // 000000012BFC: D89A9080 0000E414
	s_waitcnt lgkmcnt(0)                                       // 000000012C04: BF8CC07F
	s_barrier                                                  // 000000012C08: BF8A0000
	ds_read_b32 v160, v21                                      // 000000012C0C: D86C0000 A0000015
	ds_read_b32 v161, v21 offset:64                            // 000000012C14: D86C0040 A1000015
	ds_read_b32 v164, v21 offset:2176                          // 000000012C1C: D86C0880 A4000015
	ds_read_b32 v165, v21 offset:2240                          // 000000012C24: D86C08C0 A5000015
	ds_read_b32 v168, v21 offset:4352                          // 000000012C2C: D86C1100 A8000015
	ds_read_b32 v169, v21 offset:4416                          // 000000012C34: D86C1140 A9000015
	ds_read_b32 v172, v21 offset:6528                          // 000000012C3C: D86C1980 AC000015
	ds_read_b32 v173, v21 offset:6592                          // 000000012C44: D86C19C0 AD000015
	ds_read_b32 v176, v21 offset:8704                          // 000000012C4C: D86C2200 B0000015
	ds_read_b32 v177, v21 offset:8768                          // 000000012C54: D86C2240 B1000015
	ds_read_b32 v180, v21 offset:10880                         // 000000012C5C: D86C2A80 B4000015
	ds_read_b32 v181, v21 offset:10944                         // 000000012C64: D86C2AC0 B5000015
	ds_read_b32 v184, v21 offset:13056                         // 000000012C6C: D86C3300 B8000015
	ds_read_b32 v185, v21 offset:13120                         // 000000012C74: D86C3340 B9000015
	ds_read_b32 v188, v21 offset:15232                         // 000000012C7C: D86C3B80 BC000015
	ds_read_b32 v189, v21 offset:15296                         // 000000012C84: D86C3BC0 BD000015
	ds_read_b32 v192, v21 offset:17408                         // 000000012C8C: D86C4400 C0000015
	ds_read_b32 v193, v21 offset:17472                         // 000000012C94: D86C4440 C1000015
	ds_read_b32 v196, v21 offset:19584                         // 000000012C9C: D86C4C80 C4000015
	ds_read_b32 v197, v21 offset:19648                         // 000000012CA4: D86C4CC0 C5000015
	ds_read_b32 v200, v21 offset:21760                         // 000000012CAC: D86C5500 C8000015
	ds_read_b32 v201, v21 offset:21824                         // 000000012CB4: D86C5540 C9000015
	ds_read_b32 v204, v21 offset:23936                         // 000000012CBC: D86C5D80 CC000015
	ds_read_b32 v205, v21 offset:24000                         // 000000012CC4: D86C5DC0 CD000015
	ds_read_b32 v208, v21 offset:26112                         // 000000012CCC: D86C6600 D0000015
	ds_read_b32 v209, v21 offset:26176                         // 000000012CD4: D86C6640 D1000015
	ds_read_b32 v212, v21 offset:28288                         // 000000012CDC: D86C6E80 D4000015
	ds_read_b32 v213, v21 offset:28352                         // 000000012CE4: D86C6EC0 D5000015
	ds_read_b32 v216, v21 offset:30464                         // 000000012CEC: D86C7700 D8000015
	ds_read_b32 v217, v21 offset:30528                         // 000000012CF4: D86C7740 D9000015
	ds_read_b32 v220, v21 offset:32640                         // 000000012CFC: D86C7F80 DC000015
	ds_read_b32 v221, v21 offset:32704                         // 000000012D04: D86C7FC0 DD000015
	ds_read_b32 v224, v21 offset:34816                         // 000000012D0C: D86C8800 E0000015
	ds_read_b32 v225, v21 offset:34880                         // 000000012D14: D86C8840 E1000015
	ds_read_b32 v228, v21 offset:36992                         // 000000012D1C: D86C9080 E4000015
	ds_read_b32 v229, v21 offset:37056                         // 000000012D24: D86C90C0 E5000015
	s_mul_i32 s60, s65, 4                                      // 000000012D2C: 923C8441
	s_add_u32 s8, s60, s8                                      // 000000012D30: 8008083C
	s_addc_u32 s9, 0, s9                                       // 000000012D34: 82090980
	s_waitcnt lgkmcnt(0)                                       // 000000012D38: BF8CC07F
	v_mov_b32_e32 v7, 0                                        // 000000012D3C: 7E0E0280
	s_mov_b64 exec, s[36:37]                                   // 000000012D40: BEFE0124
	v_mov_b32_e32 v6, v66                                      // 000000012D44: 7E0C0342
	s_mov_b64 s[60:61], 0                                      // 000000012D48: BEBC0180
	v_readlane_b32 s82, v3, 0                                  // 000000012D4C: D2890052 00010103
	s_and_b32 s82, s82, 0xffffff                               // 000000012D54: 8652FF52 00FFFFFF
	s_cmp_lt_u32 s82, s66                                      // 000000012D5C: BF0A4252
	s_cselect_b32 s20, s36, s60                                // 000000012D60: 85143C24
	v_readlane_b32 s82, v3, 1                                  // 000000012D64: D2890052 00010303
	s_and_b32 s82, s82, 0xffffff                               // 000000012D6C: 8652FF52 00FFFFFF
	s_cmp_lt_u32 s82, s66                                      // 000000012D74: BF0A4252
	s_cselect_b32 s21, s36, s60                                // 000000012D78: 85153C24
	s_mov_b64 exec, s[20:21]                                   // 000000012D7C: BEFE0114
	global_atomic_add_f32 v6, v160, s[8:9]                     // 000000012D80: DD348000 0008A006
	global_atomic_add_f32 v6, v164, s[8:9] offset:256          // 000000012D88: DD348100 0008A406
	s_mov_b64 exec, s[36:37]                                   // 000000012D90: BEFE0124
	v_mov_b32_e32 v6, v67                                      // 000000012D94: 7E0C0343
	s_mov_b64 s[60:61], 0                                      // 000000012D98: BEBC0180
	v_readlane_b32 s82, v3, 2                                  // 000000012D9C: D2890052 00010503
	s_and_b32 s82, s82, 0xffffff                               // 000000012DA4: 8652FF52 00FFFFFF
	s_cmp_lt_u32 s82, s66                                      // 000000012DAC: BF0A4252
	s_cselect_b32 s20, s36, s60                                // 000000012DB0: 85143C24
	v_readlane_b32 s82, v3, 3                                  // 000000012DB4: D2890052 00010703
	s_and_b32 s82, s82, 0xffffff                               // 000000012DBC: 8652FF52 00FFFFFF
	s_cmp_lt_u32 s82, s66                                      // 000000012DC4: BF0A4252
	s_cselect_b32 s21, s36, s60                                // 000000012DC8: 85153C24
	s_mov_b64 exec, s[20:21]                                   // 000000012DCC: BEFE0114
	global_atomic_add_f32 v6, v161, s[8:9]                     // 000000012DD0: DD348000 0008A106
	global_atomic_add_f32 v6, v165, s[8:9] offset:256          // 000000012DD8: DD348100 0008A506
	s_mov_b64 exec, s[36:37]                                   // 000000012DE0: BEFE0124
	v_mov_b32_e32 v6, v68                                      // 000000012DE4: 7E0C0344
	s_mov_b64 s[60:61], 0                                      // 000000012DE8: BEBC0180
	v_readlane_b32 s82, v3, 4                                  // 000000012DEC: D2890052 00010903
	s_and_b32 s82, s82, 0xffffff                               // 000000012DF4: 8652FF52 00FFFFFF
	s_cmp_lt_u32 s82, s66                                      // 000000012DFC: BF0A4252
	s_cselect_b32 s20, s36, s60                                // 000000012E00: 85143C24
	v_readlane_b32 s82, v3, 5                                  // 000000012E04: D2890052 00010B03
	s_and_b32 s82, s82, 0xffffff                               // 000000012E0C: 8652FF52 00FFFFFF
	s_cmp_lt_u32 s82, s66                                      // 000000012E14: BF0A4252
	s_cselect_b32 s21, s36, s60                                // 000000012E18: 85153C24
	s_mov_b64 exec, s[20:21]                                   // 000000012E1C: BEFE0114
	global_atomic_add_f32 v6, v168, s[8:9]                     // 000000012E20: DD348000 0008A806
	global_atomic_add_f32 v6, v172, s[8:9] offset:256          // 000000012E28: DD348100 0008AC06
	s_mov_b64 exec, s[36:37]                                   // 000000012E30: BEFE0124
	v_mov_b32_e32 v6, v69                                      // 000000012E34: 7E0C0345
	s_mov_b64 s[60:61], 0                                      // 000000012E38: BEBC0180
	v_readlane_b32 s82, v3, 6                                  // 000000012E3C: D2890052 00010D03
	s_and_b32 s82, s82, 0xffffff                               // 000000012E44: 8652FF52 00FFFFFF
	s_cmp_lt_u32 s82, s66                                      // 000000012E4C: BF0A4252
	s_cselect_b32 s20, s36, s60                                // 000000012E50: 85143C24
	v_readlane_b32 s82, v3, 7                                  // 000000012E54: D2890052 00010F03
	s_and_b32 s82, s82, 0xffffff                               // 000000012E5C: 8652FF52 00FFFFFF
	s_cmp_lt_u32 s82, s66                                      // 000000012E64: BF0A4252
	s_cselect_b32 s21, s36, s60                                // 000000012E68: 85153C24
	s_mov_b64 exec, s[20:21]                                   // 000000012E6C: BEFE0114
	global_atomic_add_f32 v6, v169, s[8:9]                     // 000000012E70: DD348000 0008A906
	global_atomic_add_f32 v6, v173, s[8:9] offset:256          // 000000012E78: DD348100 0008AD06
	s_mov_b64 exec, s[36:37]                                   // 000000012E80: BEFE0124
	v_mov_b32_e32 v6, v70                                      // 000000012E84: 7E0C0346
	s_mov_b64 s[60:61], 0                                      // 000000012E88: BEBC0180
	v_readlane_b32 s82, v3, 8                                  // 000000012E8C: D2890052 00011103
	s_and_b32 s82, s82, 0xffffff                               // 000000012E94: 8652FF52 00FFFFFF
	s_cmp_lt_u32 s82, s66                                      // 000000012E9C: BF0A4252
	s_cselect_b32 s20, s36, s60                                // 000000012EA0: 85143C24
	v_readlane_b32 s82, v3, 9                                  // 000000012EA4: D2890052 00011303
	s_and_b32 s82, s82, 0xffffff                               // 000000012EAC: 8652FF52 00FFFFFF
	s_cmp_lt_u32 s82, s66                                      // 000000012EB4: BF0A4252
	s_cselect_b32 s21, s36, s60                                // 000000012EB8: 85153C24
	s_mov_b64 exec, s[20:21]                                   // 000000012EBC: BEFE0114
	global_atomic_add_f32 v6, v176, s[8:9]                     // 000000012EC0: DD348000 0008B006
	global_atomic_add_f32 v6, v180, s[8:9] offset:256          // 000000012EC8: DD348100 0008B406
	s_mov_b64 exec, s[36:37]                                   // 000000012ED0: BEFE0124
	v_mov_b32_e32 v6, v71                                      // 000000012ED4: 7E0C0347
	s_mov_b64 s[60:61], 0                                      // 000000012ED8: BEBC0180
	v_readlane_b32 s82, v3, 10                                 // 000000012EDC: D2890052 00011503
	s_and_b32 s82, s82, 0xffffff                               // 000000012EE4: 8652FF52 00FFFFFF
	s_cmp_lt_u32 s82, s66                                      // 000000012EEC: BF0A4252
	s_cselect_b32 s20, s36, s60                                // 000000012EF0: 85143C24
	v_readlane_b32 s82, v3, 11                                 // 000000012EF4: D2890052 00011703
	s_and_b32 s82, s82, 0xffffff                               // 000000012EFC: 8652FF52 00FFFFFF
	s_cmp_lt_u32 s82, s66                                      // 000000012F04: BF0A4252
	s_cselect_b32 s21, s36, s60                                // 000000012F08: 85153C24
	s_mov_b64 exec, s[20:21]                                   // 000000012F0C: BEFE0114
	global_atomic_add_f32 v6, v177, s[8:9]                     // 000000012F10: DD348000 0008B106
	global_atomic_add_f32 v6, v181, s[8:9] offset:256          // 000000012F18: DD348100 0008B506
	s_mov_b64 exec, s[36:37]                                   // 000000012F20: BEFE0124
	v_mov_b32_e32 v6, v72                                      // 000000012F24: 7E0C0348
	s_mov_b64 s[60:61], 0                                      // 000000012F28: BEBC0180
	v_readlane_b32 s82, v3, 12                                 // 000000012F2C: D2890052 00011903
	s_and_b32 s82, s82, 0xffffff                               // 000000012F34: 8652FF52 00FFFFFF
	s_cmp_lt_u32 s82, s66                                      // 000000012F3C: BF0A4252
	s_cselect_b32 s20, s36, s60                                // 000000012F40: 85143C24
	v_readlane_b32 s82, v3, 13                                 // 000000012F44: D2890052 00011B03
	s_and_b32 s82, s82, 0xffffff                               // 000000012F4C: 8652FF52 00FFFFFF
	s_cmp_lt_u32 s82, s66                                      // 000000012F54: BF0A4252
	s_cselect_b32 s21, s36, s60                                // 000000012F58: 85153C24
	s_mov_b64 exec, s[20:21]                                   // 000000012F5C: BEFE0114
	global_atomic_add_f32 v6, v184, s[8:9]                     // 000000012F60: DD348000 0008B806
	global_atomic_add_f32 v6, v188, s[8:9] offset:256          // 000000012F68: DD348100 0008BC06
	s_mov_b64 exec, s[36:37]                                   // 000000012F70: BEFE0124
	v_mov_b32_e32 v6, v73                                      // 000000012F74: 7E0C0349
	s_mov_b64 s[60:61], 0                                      // 000000012F78: BEBC0180
	v_readlane_b32 s82, v3, 14                                 // 000000012F7C: D2890052 00011D03
	s_and_b32 s82, s82, 0xffffff                               // 000000012F84: 8652FF52 00FFFFFF
	s_cmp_lt_u32 s82, s66                                      // 000000012F8C: BF0A4252
	s_cselect_b32 s20, s36, s60                                // 000000012F90: 85143C24
	v_readlane_b32 s82, v3, 15                                 // 000000012F94: D2890052 00011F03
	s_and_b32 s82, s82, 0xffffff                               // 000000012F9C: 8652FF52 00FFFFFF
	s_cmp_lt_u32 s82, s66                                      // 000000012FA4: BF0A4252
	s_cselect_b32 s21, s36, s60                                // 000000012FA8: 85153C24
	s_mov_b64 exec, s[20:21]                                   // 000000012FAC: BEFE0114
	global_atomic_add_f32 v6, v185, s[8:9]                     // 000000012FB0: DD348000 0008B906
	global_atomic_add_f32 v6, v189, s[8:9] offset:256          // 000000012FB8: DD348100 0008BD06
	s_mov_b64 exec, s[36:37]                                   // 000000012FC0: BEFE0124
	v_mov_b32_e32 v6, v74                                      // 000000012FC4: 7E0C034A
	s_mov_b64 s[60:61], 0                                      // 000000012FC8: BEBC0180
	v_readlane_b32 s82, v3, 16                                 // 000000012FCC: D2890052 00012103
	s_and_b32 s82, s82, 0xffffff                               // 000000012FD4: 8652FF52 00FFFFFF
	s_cmp_lt_u32 s82, s66                                      // 000000012FDC: BF0A4252
	s_cselect_b32 s20, s36, s60                                // 000000012FE0: 85143C24
	v_readlane_b32 s82, v3, 17                                 // 000000012FE4: D2890052 00012303
	s_and_b32 s82, s82, 0xffffff                               // 000000012FEC: 8652FF52 00FFFFFF
	s_cmp_lt_u32 s82, s66                                      // 000000012FF4: BF0A4252
	s_cselect_b32 s21, s36, s60                                // 000000012FF8: 85153C24
	s_mov_b64 exec, s[20:21]                                   // 000000012FFC: BEFE0114
	global_atomic_add_f32 v6, v192, s[8:9]                     // 000000013000: DD348000 0008C006
	global_atomic_add_f32 v6, v196, s[8:9] offset:256          // 000000013008: DD348100 0008C406
	s_mov_b64 exec, s[36:37]                                   // 000000013010: BEFE0124
	v_mov_b32_e32 v6, v75                                      // 000000013014: 7E0C034B
	s_mov_b64 s[60:61], 0                                      // 000000013018: BEBC0180
	v_readlane_b32 s82, v3, 18                                 // 00000001301C: D2890052 00012503
	s_and_b32 s82, s82, 0xffffff                               // 000000013024: 8652FF52 00FFFFFF
	s_cmp_lt_u32 s82, s66                                      // 00000001302C: BF0A4252
	s_cselect_b32 s20, s36, s60                                // 000000013030: 85143C24
	v_readlane_b32 s82, v3, 19                                 // 000000013034: D2890052 00012703
	s_and_b32 s82, s82, 0xffffff                               // 00000001303C: 8652FF52 00FFFFFF
	s_cmp_lt_u32 s82, s66                                      // 000000013044: BF0A4252
	s_cselect_b32 s21, s36, s60                                // 000000013048: 85153C24
	s_mov_b64 exec, s[20:21]                                   // 00000001304C: BEFE0114
	global_atomic_add_f32 v6, v193, s[8:9]                     // 000000013050: DD348000 0008C106
	global_atomic_add_f32 v6, v197, s[8:9] offset:256          // 000000013058: DD348100 0008C506
	s_mov_b64 exec, s[36:37]                                   // 000000013060: BEFE0124
	v_mov_b32_e32 v6, v76                                      // 000000013064: 7E0C034C
	s_mov_b64 s[60:61], 0                                      // 000000013068: BEBC0180
	v_readlane_b32 s82, v3, 20                                 // 00000001306C: D2890052 00012903
	s_and_b32 s82, s82, 0xffffff                               // 000000013074: 8652FF52 00FFFFFF
	s_cmp_lt_u32 s82, s66                                      // 00000001307C: BF0A4252
	s_cselect_b32 s20, s36, s60                                // 000000013080: 85143C24
	v_readlane_b32 s82, v3, 21                                 // 000000013084: D2890052 00012B03
	s_and_b32 s82, s82, 0xffffff                               // 00000001308C: 8652FF52 00FFFFFF
	s_cmp_lt_u32 s82, s66                                      // 000000013094: BF0A4252
	s_cselect_b32 s21, s36, s60                                // 000000013098: 85153C24
	s_mov_b64 exec, s[20:21]                                   // 00000001309C: BEFE0114
	global_atomic_add_f32 v6, v200, s[8:9]                     // 0000000130A0: DD348000 0008C806
	global_atomic_add_f32 v6, v204, s[8:9] offset:256          // 0000000130A8: DD348100 0008CC06
	s_mov_b64 exec, s[36:37]                                   // 0000000130B0: BEFE0124
	v_mov_b32_e32 v6, v77                                      // 0000000130B4: 7E0C034D
	s_mov_b64 s[60:61], 0                                      // 0000000130B8: BEBC0180
	v_readlane_b32 s82, v3, 22                                 // 0000000130BC: D2890052 00012D03
	s_and_b32 s82, s82, 0xffffff                               // 0000000130C4: 8652FF52 00FFFFFF
	s_cmp_lt_u32 s82, s66                                      // 0000000130CC: BF0A4252
	s_cselect_b32 s20, s36, s60                                // 0000000130D0: 85143C24
	v_readlane_b32 s82, v3, 23                                 // 0000000130D4: D2890052 00012F03
	s_and_b32 s82, s82, 0xffffff                               // 0000000130DC: 8652FF52 00FFFFFF
	s_cmp_lt_u32 s82, s66                                      // 0000000130E4: BF0A4252
	s_cselect_b32 s21, s36, s60                                // 0000000130E8: 85153C24
	s_mov_b64 exec, s[20:21]                                   // 0000000130EC: BEFE0114
	global_atomic_add_f32 v6, v201, s[8:9]                     // 0000000130F0: DD348000 0008C906
	global_atomic_add_f32 v6, v205, s[8:9] offset:256          // 0000000130F8: DD348100 0008CD06
	s_mov_b64 exec, s[36:37]                                   // 000000013100: BEFE0124
	v_mov_b32_e32 v6, v78                                      // 000000013104: 7E0C034E
	s_mov_b64 s[60:61], 0                                      // 000000013108: BEBC0180
	v_readlane_b32 s82, v3, 24                                 // 00000001310C: D2890052 00013103
	s_and_b32 s82, s82, 0xffffff                               // 000000013114: 8652FF52 00FFFFFF
	s_cmp_lt_u32 s82, s66                                      // 00000001311C: BF0A4252
	s_cselect_b32 s20, s36, s60                                // 000000013120: 85143C24
	v_readlane_b32 s82, v3, 25                                 // 000000013124: D2890052 00013303
	s_and_b32 s82, s82, 0xffffff                               // 00000001312C: 8652FF52 00FFFFFF
	s_cmp_lt_u32 s82, s66                                      // 000000013134: BF0A4252
	s_cselect_b32 s21, s36, s60                                // 000000013138: 85153C24
	s_mov_b64 exec, s[20:21]                                   // 00000001313C: BEFE0114
	global_atomic_add_f32 v6, v208, s[8:9]                     // 000000013140: DD348000 0008D006
	global_atomic_add_f32 v6, v212, s[8:9] offset:256          // 000000013148: DD348100 0008D406
	s_mov_b64 exec, s[36:37]                                   // 000000013150: BEFE0124
	v_mov_b32_e32 v6, v79                                      // 000000013154: 7E0C034F
	s_mov_b64 s[60:61], 0                                      // 000000013158: BEBC0180
	v_readlane_b32 s82, v3, 26                                 // 00000001315C: D2890052 00013503
	s_and_b32 s82, s82, 0xffffff                               // 000000013164: 8652FF52 00FFFFFF
	s_cmp_lt_u32 s82, s66                                      // 00000001316C: BF0A4252
	s_cselect_b32 s20, s36, s60                                // 000000013170: 85143C24
	v_readlane_b32 s82, v3, 27                                 // 000000013174: D2890052 00013703
	s_and_b32 s82, s82, 0xffffff                               // 00000001317C: 8652FF52 00FFFFFF
	s_cmp_lt_u32 s82, s66                                      // 000000013184: BF0A4252
	s_cselect_b32 s21, s36, s60                                // 000000013188: 85153C24
	s_mov_b64 exec, s[20:21]                                   // 00000001318C: BEFE0114
	global_atomic_add_f32 v6, v209, s[8:9]                     // 000000013190: DD348000 0008D106
	global_atomic_add_f32 v6, v213, s[8:9] offset:256          // 000000013198: DD348100 0008D506
	s_mov_b64 exec, s[36:37]                                   // 0000000131A0: BEFE0124
	v_mov_b32_e32 v6, v80                                      // 0000000131A4: 7E0C0350
	s_mov_b64 s[60:61], 0                                      // 0000000131A8: BEBC0180
	v_readlane_b32 s82, v3, 28                                 // 0000000131AC: D2890052 00013903
	s_and_b32 s82, s82, 0xffffff                               // 0000000131B4: 8652FF52 00FFFFFF
	s_cmp_lt_u32 s82, s66                                      // 0000000131BC: BF0A4252
	s_cselect_b32 s20, s36, s60                                // 0000000131C0: 85143C24
	v_readlane_b32 s82, v3, 29                                 // 0000000131C4: D2890052 00013B03
	s_and_b32 s82, s82, 0xffffff                               // 0000000131CC: 8652FF52 00FFFFFF
	s_cmp_lt_u32 s82, s66                                      // 0000000131D4: BF0A4252
	s_cselect_b32 s21, s36, s60                                // 0000000131D8: 85153C24
	s_mov_b64 exec, s[20:21]                                   // 0000000131DC: BEFE0114
	global_atomic_add_f32 v6, v216, s[8:9]                     // 0000000131E0: DD348000 0008D806
	global_atomic_add_f32 v6, v220, s[8:9] offset:256          // 0000000131E8: DD348100 0008DC06
	s_mov_b64 exec, s[36:37]                                   // 0000000131F0: BEFE0124
	v_mov_b32_e32 v6, v81                                      // 0000000131F4: 7E0C0351
	s_mov_b64 s[60:61], 0                                      // 0000000131F8: BEBC0180
	v_readlane_b32 s82, v3, 30                                 // 0000000131FC: D2890052 00013D03
	s_and_b32 s82, s82, 0xffffff                               // 000000013204: 8652FF52 00FFFFFF
	s_cmp_lt_u32 s82, s66                                      // 00000001320C: BF0A4252
	s_cselect_b32 s20, s36, s60                                // 000000013210: 85143C24
	v_readlane_b32 s82, v3, 31                                 // 000000013214: D2890052 00013F03
	s_and_b32 s82, s82, 0xffffff                               // 00000001321C: 8652FF52 00FFFFFF
	s_cmp_lt_u32 s82, s66                                      // 000000013224: BF0A4252
	s_cselect_b32 s21, s36, s60                                // 000000013228: 85153C24
	s_mov_b64 exec, s[20:21]                                   // 00000001322C: BEFE0114
	global_atomic_add_f32 v6, v217, s[8:9]                     // 000000013230: DD348000 0008D906
	global_atomic_add_f32 v6, v221, s[8:9] offset:256          // 000000013238: DD348100 0008DD06
	s_mov_b64 exec, s[36:37]                                   // 000000013240: BEFE0124
	v_mov_b32_e32 v6, v82                                      // 000000013244: 7E0C0352
	s_mov_b64 s[60:61], 0                                      // 000000013248: BEBC0180
	v_readlane_b32 s82, v3, 32                                 // 00000001324C: D2890052 00014103
	s_and_b32 s82, s82, 0xffffff                               // 000000013254: 8652FF52 00FFFFFF
	s_cmp_lt_u32 s82, s66                                      // 00000001325C: BF0A4252
	s_cselect_b32 s20, s36, s60                                // 000000013260: 85143C24
	v_readlane_b32 s82, v3, 33                                 // 000000013264: D2890052 00014303
	s_and_b32 s82, s82, 0xffffff                               // 00000001326C: 8652FF52 00FFFFFF
	s_cmp_lt_u32 s82, s66                                      // 000000013274: BF0A4252
	s_cselect_b32 s21, s36, s60                                // 000000013278: 85153C24
	s_mov_b64 exec, s[20:21]                                   // 00000001327C: BEFE0114
	global_atomic_add_f32 v6, v224, s[8:9]                     // 000000013280: DD348000 0008E006
	global_atomic_add_f32 v6, v228, s[8:9] offset:256          // 000000013288: DD348100 0008E406
	s_mov_b64 exec, s[36:37]                                   // 000000013290: BEFE0124
	v_mov_b32_e32 v6, v83                                      // 000000013294: 7E0C0353
	s_mov_b64 s[60:61], 0                                      // 000000013298: BEBC0180
	v_readlane_b32 s82, v3, 34                                 // 00000001329C: D2890052 00014503
	s_and_b32 s82, s82, 0xffffff                               // 0000000132A4: 8652FF52 00FFFFFF
	s_cmp_lt_u32 s82, s66                                      // 0000000132AC: BF0A4252
	s_cselect_b32 s20, s36, s60                                // 0000000132B0: 85143C24
	v_readlane_b32 s82, v3, 35                                 // 0000000132B4: D2890052 00014703
	s_and_b32 s82, s82, 0xffffff                               // 0000000132BC: 8652FF52 00FFFFFF
	s_cmp_lt_u32 s82, s66                                      // 0000000132C4: BF0A4252
	s_cselect_b32 s21, s36, s60                                // 0000000132C8: 85153C24
	s_mov_b64 exec, s[20:21]                                   // 0000000132CC: BEFE0114
	global_atomic_add_f32 v6, v225, s[8:9]                     // 0000000132D0: DD348000 0008E106
	global_atomic_add_f32 v6, v229, s[8:9] offset:256          // 0000000132D8: DD348100 0008E506
	s_mov_b64 exec, s[36:37]                                   // 0000000132E0: BEFE0124
	ds_write_b64 v20, v[162:163]                               // 0000000132E4: D89A0000 0000A214
	ds_write_b64 v20, v[166:167] offset:4352                   // 0000000132EC: D89A1100 0000A614
	ds_write_b64 v20, v[170:171] offset:8704                   // 0000000132F4: D89A2200 0000AA14
	ds_write_b64 v20, v[174:175] offset:13056                  // 0000000132FC: D89A3300 0000AE14
	ds_write_b64 v20, v[178:179] offset:17408                  // 000000013304: D89A4400 0000B214
	ds_write_b64 v20, v[182:183] offset:21760                  // 00000001330C: D89A5500 0000B614
	ds_write_b64 v20, v[186:187] offset:26112                  // 000000013314: D89A6600 0000BA14
	ds_write_b64 v20, v[190:191] offset:30464                  // 00000001331C: D89A7700 0000BE14
	ds_write_b64 v20, v[194:195] offset:34816                  // 000000013324: D89A8800 0000C214
	ds_write_b64 v20, v[198:199] offset:2176                   // 00000001332C: D89A0880 0000C614
	ds_write_b64 v20, v[202:203] offset:6528                   // 000000013334: D89A1980 0000CA14
	ds_write_b64 v20, v[206:207] offset:10880                  // 00000001333C: D89A2A80 0000CE14
	ds_write_b64 v20, v[210:211] offset:15232                  // 000000013344: D89A3B80 0000D214
	ds_write_b64 v20, v[214:215] offset:19584                  // 00000001334C: D89A4C80 0000D614
	ds_write_b64 v20, v[218:219] offset:23936                  // 000000013354: D89A5D80 0000DA14
	ds_write_b64 v20, v[222:223] offset:28288                  // 00000001335C: D89A6E80 0000DE14
	ds_write_b64 v20, v[226:227] offset:32640                  // 000000013364: D89A7F80 0000E214
	ds_write_b64 v20, v[230:231] offset:36992                  // 00000001336C: D89A9080 0000E614
	s_waitcnt lgkmcnt(0)                                       // 000000013374: BF8CC07F
	s_barrier                                                  // 000000013378: BF8A0000
	ds_read_b32 v162, v21                                      // 00000001337C: D86C0000 A2000015
	ds_read_b32 v163, v21 offset:64                            // 000000013384: D86C0040 A3000015
	ds_read_b32 v166, v21 offset:2176                          // 00000001338C: D86C0880 A6000015
	ds_read_b32 v167, v21 offset:2240                          // 000000013394: D86C08C0 A7000015
	ds_read_b32 v170, v21 offset:4352                          // 00000001339C: D86C1100 AA000015
	ds_read_b32 v171, v21 offset:4416                          // 0000000133A4: D86C1140 AB000015
	ds_read_b32 v174, v21 offset:6528                          // 0000000133AC: D86C1980 AE000015
	ds_read_b32 v175, v21 offset:6592                          // 0000000133B4: D86C19C0 AF000015
	ds_read_b32 v178, v21 offset:8704                          // 0000000133BC: D86C2200 B2000015
	ds_read_b32 v179, v21 offset:8768                          // 0000000133C4: D86C2240 B3000015
	ds_read_b32 v182, v21 offset:10880                         // 0000000133CC: D86C2A80 B6000015
	ds_read_b32 v183, v21 offset:10944                         // 0000000133D4: D86C2AC0 B7000015
	ds_read_b32 v186, v21 offset:13056                         // 0000000133DC: D86C3300 BA000015
	ds_read_b32 v187, v21 offset:13120                         // 0000000133E4: D86C3340 BB000015
	ds_read_b32 v190, v21 offset:15232                         // 0000000133EC: D86C3B80 BE000015
	ds_read_b32 v191, v21 offset:15296                         // 0000000133F4: D86C3BC0 BF000015
	ds_read_b32 v194, v21 offset:17408                         // 0000000133FC: D86C4400 C2000015
	ds_read_b32 v195, v21 offset:17472                         // 000000013404: D86C4440 C3000015
	ds_read_b32 v198, v21 offset:19584                         // 00000001340C: D86C4C80 C6000015
	ds_read_b32 v199, v21 offset:19648                         // 000000013414: D86C4CC0 C7000015
	ds_read_b32 v202, v21 offset:21760                         // 00000001341C: D86C5500 CA000015
	ds_read_b32 v203, v21 offset:21824                         // 000000013424: D86C5540 CB000015
	ds_read_b32 v206, v21 offset:23936                         // 00000001342C: D86C5D80 CE000015
	ds_read_b32 v207, v21 offset:24000                         // 000000013434: D86C5DC0 CF000015
	ds_read_b32 v210, v21 offset:26112                         // 00000001343C: D86C6600 D2000015
	ds_read_b32 v211, v21 offset:26176                         // 000000013444: D86C6640 D3000015
	ds_read_b32 v214, v21 offset:28288                         // 00000001344C: D86C6E80 D6000015
	ds_read_b32 v215, v21 offset:28352                         // 000000013454: D86C6EC0 D7000015
	ds_read_b32 v218, v21 offset:30464                         // 00000001345C: D86C7700 DA000015
	ds_read_b32 v219, v21 offset:30528                         // 000000013464: D86C7740 DB000015
	ds_read_b32 v222, v21 offset:32640                         // 00000001346C: D86C7F80 DE000015
	ds_read_b32 v223, v21 offset:32704                         // 000000013474: D86C7FC0 DF000015
	ds_read_b32 v226, v21 offset:34816                         // 00000001347C: D86C8800 E2000015
	ds_read_b32 v227, v21 offset:34880                         // 000000013484: D86C8840 E3000015
	ds_read_b32 v230, v21 offset:36992                         // 00000001348C: D86C9080 E6000015
	ds_read_b32 v231, v21 offset:37056                         // 000000013494: D86C90C0 E7000015
	s_waitcnt lgkmcnt(0)                                       // 00000001349C: BF8CC07F
	v_mov_b32_e32 v7, 0                                        // 0000000134A0: 7E0E0280
	s_mov_b64 exec, s[36:37]                                   // 0000000134A4: BEFE0124
	v_mov_b32_e32 v6, v66                                      // 0000000134A8: 7E0C0342
	s_mov_b64 s[60:61], 0                                      // 0000000134AC: BEBC0180
	v_readlane_b32 s82, v3, 0                                  // 0000000134B0: D2890052 00010103
	s_and_b32 s82, s82, 0xffffff                               // 0000000134B8: 8652FF52 00FFFFFF
	s_cmp_lt_u32 s82, s66                                      // 0000000134C0: BF0A4252
	s_cselect_b32 s20, s36, s60                                // 0000000134C4: 85143C24
	v_readlane_b32 s82, v3, 1                                  // 0000000134C8: D2890052 00010303
	s_and_b32 s82, s82, 0xffffff                               // 0000000134D0: 8652FF52 00FFFFFF
	s_cmp_lt_u32 s82, s66                                      // 0000000134D8: BF0A4252
	s_cselect_b32 s21, s36, s60                                // 0000000134DC: 85153C24
	s_mov_b64 exec, s[20:21]                                   // 0000000134E0: BEFE0114
	global_atomic_add_f32 v6, v162, s[8:9] offset:8            // 0000000134E4: DD348008 0008A206
	global_atomic_add_f32 v6, v166, s[8:9] offset:264          // 0000000134EC: DD348108 0008A606
	s_mov_b64 exec, s[36:37]                                   // 0000000134F4: BEFE0124
	v_mov_b32_e32 v6, v67                                      // 0000000134F8: 7E0C0343
	s_mov_b64 s[60:61], 0                                      // 0000000134FC: BEBC0180
	v_readlane_b32 s82, v3, 2                                  // 000000013500: D2890052 00010503
	s_and_b32 s82, s82, 0xffffff                               // 000000013508: 8652FF52 00FFFFFF
	s_cmp_lt_u32 s82, s66                                      // 000000013510: BF0A4252
	s_cselect_b32 s20, s36, s60                                // 000000013514: 85143C24
	v_readlane_b32 s82, v3, 3                                  // 000000013518: D2890052 00010703
	s_and_b32 s82, s82, 0xffffff                               // 000000013520: 8652FF52 00FFFFFF
	s_cmp_lt_u32 s82, s66                                      // 000000013528: BF0A4252
	s_cselect_b32 s21, s36, s60                                // 00000001352C: 85153C24
	s_mov_b64 exec, s[20:21]                                   // 000000013530: BEFE0114
	global_atomic_add_f32 v6, v163, s[8:9] offset:8            // 000000013534: DD348008 0008A306
	global_atomic_add_f32 v6, v167, s[8:9] offset:264          // 00000001353C: DD348108 0008A706
	s_mov_b64 exec, s[36:37]                                   // 000000013544: BEFE0124
	v_mov_b32_e32 v6, v68                                      // 000000013548: 7E0C0344
	s_mov_b64 s[60:61], 0                                      // 00000001354C: BEBC0180
	v_readlane_b32 s82, v3, 4                                  // 000000013550: D2890052 00010903
	s_and_b32 s82, s82, 0xffffff                               // 000000013558: 8652FF52 00FFFFFF
	s_cmp_lt_u32 s82, s66                                      // 000000013560: BF0A4252
	s_cselect_b32 s20, s36, s60                                // 000000013564: 85143C24
	v_readlane_b32 s82, v3, 5                                  // 000000013568: D2890052 00010B03
	s_and_b32 s82, s82, 0xffffff                               // 000000013570: 8652FF52 00FFFFFF
	s_cmp_lt_u32 s82, s66                                      // 000000013578: BF0A4252
	s_cselect_b32 s21, s36, s60                                // 00000001357C: 85153C24
	s_mov_b64 exec, s[20:21]                                   // 000000013580: BEFE0114
	global_atomic_add_f32 v6, v170, s[8:9] offset:8            // 000000013584: DD348008 0008AA06
	global_atomic_add_f32 v6, v174, s[8:9] offset:264          // 00000001358C: DD348108 0008AE06
	s_mov_b64 exec, s[36:37]                                   // 000000013594: BEFE0124
	v_mov_b32_e32 v6, v69                                      // 000000013598: 7E0C0345
	s_mov_b64 s[60:61], 0                                      // 00000001359C: BEBC0180
	v_readlane_b32 s82, v3, 6                                  // 0000000135A0: D2890052 00010D03
	s_and_b32 s82, s82, 0xffffff                               // 0000000135A8: 8652FF52 00FFFFFF
	s_cmp_lt_u32 s82, s66                                      // 0000000135B0: BF0A4252
	s_cselect_b32 s20, s36, s60                                // 0000000135B4: 85143C24
	v_readlane_b32 s82, v3, 7                                  // 0000000135B8: D2890052 00010F03
	s_and_b32 s82, s82, 0xffffff                               // 0000000135C0: 8652FF52 00FFFFFF
	s_cmp_lt_u32 s82, s66                                      // 0000000135C8: BF0A4252
	s_cselect_b32 s21, s36, s60                                // 0000000135CC: 85153C24
	s_mov_b64 exec, s[20:21]                                   // 0000000135D0: BEFE0114
	global_atomic_add_f32 v6, v171, s[8:9] offset:8            // 0000000135D4: DD348008 0008AB06
	global_atomic_add_f32 v6, v175, s[8:9] offset:264          // 0000000135DC: DD348108 0008AF06
	s_mov_b64 exec, s[36:37]                                   // 0000000135E4: BEFE0124
	v_mov_b32_e32 v6, v70                                      // 0000000135E8: 7E0C0346
	s_mov_b64 s[60:61], 0                                      // 0000000135EC: BEBC0180
	v_readlane_b32 s82, v3, 8                                  // 0000000135F0: D2890052 00011103
	s_and_b32 s82, s82, 0xffffff                               // 0000000135F8: 8652FF52 00FFFFFF
	s_cmp_lt_u32 s82, s66                                      // 000000013600: BF0A4252
	s_cselect_b32 s20, s36, s60                                // 000000013604: 85143C24
	v_readlane_b32 s82, v3, 9                                  // 000000013608: D2890052 00011303
	s_and_b32 s82, s82, 0xffffff                               // 000000013610: 8652FF52 00FFFFFF
	s_cmp_lt_u32 s82, s66                                      // 000000013618: BF0A4252
	s_cselect_b32 s21, s36, s60                                // 00000001361C: 85153C24
	s_mov_b64 exec, s[20:21]                                   // 000000013620: BEFE0114
	global_atomic_add_f32 v6, v178, s[8:9] offset:8            // 000000013624: DD348008 0008B206
	global_atomic_add_f32 v6, v182, s[8:9] offset:264          // 00000001362C: DD348108 0008B606
	s_mov_b64 exec, s[36:37]                                   // 000000013634: BEFE0124
	v_mov_b32_e32 v6, v71                                      // 000000013638: 7E0C0347
	s_mov_b64 s[60:61], 0                                      // 00000001363C: BEBC0180
	v_readlane_b32 s82, v3, 10                                 // 000000013640: D2890052 00011503
	s_and_b32 s82, s82, 0xffffff                               // 000000013648: 8652FF52 00FFFFFF
	s_cmp_lt_u32 s82, s66                                      // 000000013650: BF0A4252
	s_cselect_b32 s20, s36, s60                                // 000000013654: 85143C24
	v_readlane_b32 s82, v3, 11                                 // 000000013658: D2890052 00011703
	s_and_b32 s82, s82, 0xffffff                               // 000000013660: 8652FF52 00FFFFFF
	s_cmp_lt_u32 s82, s66                                      // 000000013668: BF0A4252
	s_cselect_b32 s21, s36, s60                                // 00000001366C: 85153C24
	s_mov_b64 exec, s[20:21]                                   // 000000013670: BEFE0114
	global_atomic_add_f32 v6, v179, s[8:9] offset:8            // 000000013674: DD348008 0008B306
	global_atomic_add_f32 v6, v183, s[8:9] offset:264          // 00000001367C: DD348108 0008B706
	s_mov_b64 exec, s[36:37]                                   // 000000013684: BEFE0124
	v_mov_b32_e32 v6, v72                                      // 000000013688: 7E0C0348
	s_mov_b64 s[60:61], 0                                      // 00000001368C: BEBC0180
	v_readlane_b32 s82, v3, 12                                 // 000000013690: D2890052 00011903
	s_and_b32 s82, s82, 0xffffff                               // 000000013698: 8652FF52 00FFFFFF
	s_cmp_lt_u32 s82, s66                                      // 0000000136A0: BF0A4252
	s_cselect_b32 s20, s36, s60                                // 0000000136A4: 85143C24
	v_readlane_b32 s82, v3, 13                                 // 0000000136A8: D2890052 00011B03
	s_and_b32 s82, s82, 0xffffff                               // 0000000136B0: 8652FF52 00FFFFFF
	s_cmp_lt_u32 s82, s66                                      // 0000000136B8: BF0A4252
	s_cselect_b32 s21, s36, s60                                // 0000000136BC: 85153C24
	s_mov_b64 exec, s[20:21]                                   // 0000000136C0: BEFE0114
	global_atomic_add_f32 v6, v186, s[8:9] offset:8            // 0000000136C4: DD348008 0008BA06
	global_atomic_add_f32 v6, v190, s[8:9] offset:264          // 0000000136CC: DD348108 0008BE06
	s_mov_b64 exec, s[36:37]                                   // 0000000136D4: BEFE0124
	v_mov_b32_e32 v6, v73                                      // 0000000136D8: 7E0C0349
	s_mov_b64 s[60:61], 0                                      // 0000000136DC: BEBC0180
	v_readlane_b32 s82, v3, 14                                 // 0000000136E0: D2890052 00011D03
	s_and_b32 s82, s82, 0xffffff                               // 0000000136E8: 8652FF52 00FFFFFF
	s_cmp_lt_u32 s82, s66                                      // 0000000136F0: BF0A4252
	s_cselect_b32 s20, s36, s60                                // 0000000136F4: 85143C24
	v_readlane_b32 s82, v3, 15                                 // 0000000136F8: D2890052 00011F03
	s_and_b32 s82, s82, 0xffffff                               // 000000013700: 8652FF52 00FFFFFF
	s_cmp_lt_u32 s82, s66                                      // 000000013708: BF0A4252
	s_cselect_b32 s21, s36, s60                                // 00000001370C: 85153C24
	s_mov_b64 exec, s[20:21]                                   // 000000013710: BEFE0114
	global_atomic_add_f32 v6, v187, s[8:9] offset:8            // 000000013714: DD348008 0008BB06
	global_atomic_add_f32 v6, v191, s[8:9] offset:264          // 00000001371C: DD348108 0008BF06
	s_mov_b64 exec, s[36:37]                                   // 000000013724: BEFE0124
	v_mov_b32_e32 v6, v74                                      // 000000013728: 7E0C034A
	s_mov_b64 s[60:61], 0                                      // 00000001372C: BEBC0180
	v_readlane_b32 s82, v3, 16                                 // 000000013730: D2890052 00012103
	s_and_b32 s82, s82, 0xffffff                               // 000000013738: 8652FF52 00FFFFFF
	s_cmp_lt_u32 s82, s66                                      // 000000013740: BF0A4252
	s_cselect_b32 s20, s36, s60                                // 000000013744: 85143C24
	v_readlane_b32 s82, v3, 17                                 // 000000013748: D2890052 00012303
	s_and_b32 s82, s82, 0xffffff                               // 000000013750: 8652FF52 00FFFFFF
	s_cmp_lt_u32 s82, s66                                      // 000000013758: BF0A4252
	s_cselect_b32 s21, s36, s60                                // 00000001375C: 85153C24
	s_mov_b64 exec, s[20:21]                                   // 000000013760: BEFE0114
	global_atomic_add_f32 v6, v194, s[8:9] offset:8            // 000000013764: DD348008 0008C206
	global_atomic_add_f32 v6, v198, s[8:9] offset:264          // 00000001376C: DD348108 0008C606
	s_mov_b64 exec, s[36:37]                                   // 000000013774: BEFE0124
	v_mov_b32_e32 v6, v75                                      // 000000013778: 7E0C034B
	s_mov_b64 s[60:61], 0                                      // 00000001377C: BEBC0180
	v_readlane_b32 s82, v3, 18                                 // 000000013780: D2890052 00012503
	s_and_b32 s82, s82, 0xffffff                               // 000000013788: 8652FF52 00FFFFFF
	s_cmp_lt_u32 s82, s66                                      // 000000013790: BF0A4252
	s_cselect_b32 s20, s36, s60                                // 000000013794: 85143C24
	v_readlane_b32 s82, v3, 19                                 // 000000013798: D2890052 00012703
	s_and_b32 s82, s82, 0xffffff                               // 0000000137A0: 8652FF52 00FFFFFF
	s_cmp_lt_u32 s82, s66                                      // 0000000137A8: BF0A4252
	s_cselect_b32 s21, s36, s60                                // 0000000137AC: 85153C24
	s_mov_b64 exec, s[20:21]                                   // 0000000137B0: BEFE0114
	global_atomic_add_f32 v6, v195, s[8:9] offset:8            // 0000000137B4: DD348008 0008C306
	global_atomic_add_f32 v6, v199, s[8:9] offset:264          // 0000000137BC: DD348108 0008C706
	s_mov_b64 exec, s[36:37]                                   // 0000000137C4: BEFE0124
	v_mov_b32_e32 v6, v76                                      // 0000000137C8: 7E0C034C
	s_mov_b64 s[60:61], 0                                      // 0000000137CC: BEBC0180
	v_readlane_b32 s82, v3, 20                                 // 0000000137D0: D2890052 00012903
	s_and_b32 s82, s82, 0xffffff                               // 0000000137D8: 8652FF52 00FFFFFF
	s_cmp_lt_u32 s82, s66                                      // 0000000137E0: BF0A4252
	s_cselect_b32 s20, s36, s60                                // 0000000137E4: 85143C24
	v_readlane_b32 s82, v3, 21                                 // 0000000137E8: D2890052 00012B03
	s_and_b32 s82, s82, 0xffffff                               // 0000000137F0: 8652FF52 00FFFFFF
	s_cmp_lt_u32 s82, s66                                      // 0000000137F8: BF0A4252
	s_cselect_b32 s21, s36, s60                                // 0000000137FC: 85153C24
	s_mov_b64 exec, s[20:21]                                   // 000000013800: BEFE0114
	global_atomic_add_f32 v6, v202, s[8:9] offset:8            // 000000013804: DD348008 0008CA06
	global_atomic_add_f32 v6, v206, s[8:9] offset:264          // 00000001380C: DD348108 0008CE06
	s_mov_b64 exec, s[36:37]                                   // 000000013814: BEFE0124
	v_mov_b32_e32 v6, v77                                      // 000000013818: 7E0C034D
	s_mov_b64 s[60:61], 0                                      // 00000001381C: BEBC0180
	v_readlane_b32 s82, v3, 22                                 // 000000013820: D2890052 00012D03
	s_and_b32 s82, s82, 0xffffff                               // 000000013828: 8652FF52 00FFFFFF
	s_cmp_lt_u32 s82, s66                                      // 000000013830: BF0A4252
	s_cselect_b32 s20, s36, s60                                // 000000013834: 85143C24
	v_readlane_b32 s82, v3, 23                                 // 000000013838: D2890052 00012F03
	s_and_b32 s82, s82, 0xffffff                               // 000000013840: 8652FF52 00FFFFFF
	s_cmp_lt_u32 s82, s66                                      // 000000013848: BF0A4252
	s_cselect_b32 s21, s36, s60                                // 00000001384C: 85153C24
	s_mov_b64 exec, s[20:21]                                   // 000000013850: BEFE0114
	global_atomic_add_f32 v6, v203, s[8:9] offset:8            // 000000013854: DD348008 0008CB06
	global_atomic_add_f32 v6, v207, s[8:9] offset:264          // 00000001385C: DD348108 0008CF06
	s_mov_b64 exec, s[36:37]                                   // 000000013864: BEFE0124
	v_mov_b32_e32 v6, v78                                      // 000000013868: 7E0C034E
	s_mov_b64 s[60:61], 0                                      // 00000001386C: BEBC0180
	v_readlane_b32 s82, v3, 24                                 // 000000013870: D2890052 00013103
	s_and_b32 s82, s82, 0xffffff                               // 000000013878: 8652FF52 00FFFFFF
	s_cmp_lt_u32 s82, s66                                      // 000000013880: BF0A4252
	s_cselect_b32 s20, s36, s60                                // 000000013884: 85143C24
	v_readlane_b32 s82, v3, 25                                 // 000000013888: D2890052 00013303
	s_and_b32 s82, s82, 0xffffff                               // 000000013890: 8652FF52 00FFFFFF
	s_cmp_lt_u32 s82, s66                                      // 000000013898: BF0A4252
	s_cselect_b32 s21, s36, s60                                // 00000001389C: 85153C24
	s_mov_b64 exec, s[20:21]                                   // 0000000138A0: BEFE0114
	global_atomic_add_f32 v6, v210, s[8:9] offset:8            // 0000000138A4: DD348008 0008D206
	global_atomic_add_f32 v6, v214, s[8:9] offset:264          // 0000000138AC: DD348108 0008D606
	s_mov_b64 exec, s[36:37]                                   // 0000000138B4: BEFE0124
	v_mov_b32_e32 v6, v79                                      // 0000000138B8: 7E0C034F
	s_mov_b64 s[60:61], 0                                      // 0000000138BC: BEBC0180
	v_readlane_b32 s82, v3, 26                                 // 0000000138C0: D2890052 00013503
	s_and_b32 s82, s82, 0xffffff                               // 0000000138C8: 8652FF52 00FFFFFF
	s_cmp_lt_u32 s82, s66                                      // 0000000138D0: BF0A4252
	s_cselect_b32 s20, s36, s60                                // 0000000138D4: 85143C24
	v_readlane_b32 s82, v3, 27                                 // 0000000138D8: D2890052 00013703
	s_and_b32 s82, s82, 0xffffff                               // 0000000138E0: 8652FF52 00FFFFFF
	s_cmp_lt_u32 s82, s66                                      // 0000000138E8: BF0A4252
	s_cselect_b32 s21, s36, s60                                // 0000000138EC: 85153C24
	s_mov_b64 exec, s[20:21]                                   // 0000000138F0: BEFE0114
	global_atomic_add_f32 v6, v211, s[8:9] offset:8            // 0000000138F4: DD348008 0008D306
	global_atomic_add_f32 v6, v215, s[8:9] offset:264          // 0000000138FC: DD348108 0008D706
	s_mov_b64 exec, s[36:37]                                   // 000000013904: BEFE0124
	v_mov_b32_e32 v6, v80                                      // 000000013908: 7E0C0350
	s_mov_b64 s[60:61], 0                                      // 00000001390C: BEBC0180
	v_readlane_b32 s82, v3, 28                                 // 000000013910: D2890052 00013903
	s_and_b32 s82, s82, 0xffffff                               // 000000013918: 8652FF52 00FFFFFF
	s_cmp_lt_u32 s82, s66                                      // 000000013920: BF0A4252
	s_cselect_b32 s20, s36, s60                                // 000000013924: 85143C24
	v_readlane_b32 s82, v3, 29                                 // 000000013928: D2890052 00013B03
	s_and_b32 s82, s82, 0xffffff                               // 000000013930: 8652FF52 00FFFFFF
	s_cmp_lt_u32 s82, s66                                      // 000000013938: BF0A4252
	s_cselect_b32 s21, s36, s60                                // 00000001393C: 85153C24
	s_mov_b64 exec, s[20:21]                                   // 000000013940: BEFE0114
	global_atomic_add_f32 v6, v218, s[8:9] offset:8            // 000000013944: DD348008 0008DA06
	global_atomic_add_f32 v6, v222, s[8:9] offset:264          // 00000001394C: DD348108 0008DE06
	s_mov_b64 exec, s[36:37]                                   // 000000013954: BEFE0124
	v_mov_b32_e32 v6, v81                                      // 000000013958: 7E0C0351
	s_mov_b64 s[60:61], 0                                      // 00000001395C: BEBC0180
	v_readlane_b32 s82, v3, 30                                 // 000000013960: D2890052 00013D03
	s_and_b32 s82, s82, 0xffffff                               // 000000013968: 8652FF52 00FFFFFF
	s_cmp_lt_u32 s82, s66                                      // 000000013970: BF0A4252
	s_cselect_b32 s20, s36, s60                                // 000000013974: 85143C24
	v_readlane_b32 s82, v3, 31                                 // 000000013978: D2890052 00013F03
	s_and_b32 s82, s82, 0xffffff                               // 000000013980: 8652FF52 00FFFFFF
	s_cmp_lt_u32 s82, s66                                      // 000000013988: BF0A4252
	s_cselect_b32 s21, s36, s60                                // 00000001398C: 85153C24
	s_mov_b64 exec, s[20:21]                                   // 000000013990: BEFE0114
	global_atomic_add_f32 v6, v219, s[8:9] offset:8            // 000000013994: DD348008 0008DB06
	global_atomic_add_f32 v6, v223, s[8:9] offset:264          // 00000001399C: DD348108 0008DF06
	s_mov_b64 exec, s[36:37]                                   // 0000000139A4: BEFE0124
	v_mov_b32_e32 v6, v82                                      // 0000000139A8: 7E0C0352
	s_mov_b64 s[60:61], 0                                      // 0000000139AC: BEBC0180
	v_readlane_b32 s82, v3, 32                                 // 0000000139B0: D2890052 00014103
	s_and_b32 s82, s82, 0xffffff                               // 0000000139B8: 8652FF52 00FFFFFF
	s_cmp_lt_u32 s82, s66                                      // 0000000139C0: BF0A4252
	s_cselect_b32 s20, s36, s60                                // 0000000139C4: 85143C24
	v_readlane_b32 s82, v3, 33                                 // 0000000139C8: D2890052 00014303
	s_and_b32 s82, s82, 0xffffff                               // 0000000139D0: 8652FF52 00FFFFFF
	s_cmp_lt_u32 s82, s66                                      // 0000000139D8: BF0A4252
	s_cselect_b32 s21, s36, s60                                // 0000000139DC: 85153C24
	s_mov_b64 exec, s[20:21]                                   // 0000000139E0: BEFE0114
	global_atomic_add_f32 v6, v226, s[8:9] offset:8            // 0000000139E4: DD348008 0008E206
	global_atomic_add_f32 v6, v230, s[8:9] offset:264          // 0000000139EC: DD348108 0008E606
	s_mov_b64 exec, s[36:37]                                   // 0000000139F4: BEFE0124
	v_mov_b32_e32 v6, v83                                      // 0000000139F8: 7E0C0353
	s_mov_b64 s[60:61], 0                                      // 0000000139FC: BEBC0180
	v_readlane_b32 s82, v3, 34                                 // 000000013A00: D2890052 00014503
	s_and_b32 s82, s82, 0xffffff                               // 000000013A08: 8652FF52 00FFFFFF
	s_cmp_lt_u32 s82, s66                                      // 000000013A10: BF0A4252
	s_cselect_b32 s20, s36, s60                                // 000000013A14: 85143C24
	v_readlane_b32 s82, v3, 35                                 // 000000013A18: D2890052 00014703
	s_and_b32 s82, s82, 0xffffff                               // 000000013A20: 8652FF52 00FFFFFF
	s_cmp_lt_u32 s82, s66                                      // 000000013A28: BF0A4252
	s_cselect_b32 s21, s36, s60                                // 000000013A2C: 85153C24
	s_mov_b64 exec, s[20:21]                                   // 000000013A30: BEFE0114
	global_atomic_add_f32 v6, v227, s[8:9] offset:8            // 000000013A34: DD348008 0008E306
	global_atomic_add_f32 v6, v231, s[8:9] offset:264          // 000000013A3C: DD348108 0008E706
	s_mov_b64 exec, s[36:37]                                   // 000000013A44: BEFE0124
	s_branch label_4416                                        // 000000013A48: BF820000

0000000000013a4c <label_4416>:
	s_waitcnt vmcnt(0) expcnt(0) lgkmcnt(0)                    // 000000013A4C: BF8C0000
	s_endpgm                                                   // 000000013A50: BF810000
